;; amdgpu-corpus repo=ROCm/rocFFT kind=compiled arch=gfx1201 opt=O3
	.text
	.amdgcn_target "amdgcn-amd-amdhsa--gfx1201"
	.amdhsa_code_object_version 6
	.protected	bluestein_single_back_len165_dim1_dp_op_CI_CI ; -- Begin function bluestein_single_back_len165_dim1_dp_op_CI_CI
	.globl	bluestein_single_back_len165_dim1_dp_op_CI_CI
	.p2align	8
	.type	bluestein_single_back_len165_dim1_dp_op_CI_CI,@function
bluestein_single_back_len165_dim1_dp_op_CI_CI: ; @bluestein_single_back_len165_dim1_dp_op_CI_CI
; %bb.0:
	s_load_b128 s[12:15], s[0:1], 0x28
	v_mul_u32_u24_e32 v1, 0x1746, v0
	s_mov_b32 s2, exec_lo
	s_delay_alu instid0(VALU_DEP_1) | instskip(NEXT) | instid1(VALU_DEP_1)
	v_lshrrev_b32_e32 v1, 16, v1
	v_mad_co_u64_u32 v[206:207], null, ttmp9, 5, v[1:2]
	v_mov_b32_e32 v207, 0
	s_wait_kmcnt 0x0
	s_delay_alu instid0(VALU_DEP_1)
	v_cmpx_gt_u64_e64 s[12:13], v[206:207]
	s_cbranch_execz .LBB0_15
; %bb.1:
	s_clause 0x1
	s_load_b128 s[4:7], s[0:1], 0x18
	s_load_b64 s[12:13], s[0:1], 0x0
	v_mul_lo_u16 v1, v1, 11
	s_delay_alu instid0(VALU_DEP_1) | instskip(NEXT) | instid1(VALU_DEP_1)
	v_sub_nc_u16 v6, v0, v1
	v_and_b32_e32 v255, 0xffff, v6
	s_wait_kmcnt 0x0
	s_load_b128 s[8:11], s[4:5], 0x0
	s_wait_kmcnt 0x0
	s_delay_alu instid0(VALU_DEP_1) | instskip(SKIP_2) | instid1(VALU_DEP_2)
	v_mad_co_u64_u32 v[16:17], null, s8, v255, 0
	v_mad_co_u64_u32 v[0:1], null, s10, v206, 0
	s_mul_u64 s[2:3], s[8:9], 15
	v_mov_b32_e32 v2, v17
	v_lshlrev_b32_e32 v224, 4, v255
	s_delay_alu instid0(VALU_DEP_2) | instskip(NEXT) | instid1(VALU_DEP_1)
	v_mad_co_u64_u32 v[3:4], null, s11, v206, v[1:2]
	v_mov_b32_e32 v1, v3
	v_mad_co_u64_u32 v[4:5], null, s9, v255, v[2:3]
	s_delay_alu instid0(VALU_DEP_2) | instskip(SKIP_1) | instid1(VALU_DEP_2)
	v_lshlrev_b64_e32 v[18:19], 4, v[0:1]
	v_mul_hi_u32 v0, 0xcccccccd, v206
	v_add_co_u32 v46, vcc_lo, s14, v18
	s_delay_alu instid0(VALU_DEP_3) | instskip(NEXT) | instid1(VALU_DEP_3)
	v_add_co_ci_u32_e32 v47, vcc_lo, s15, v19, vcc_lo
	v_lshrrev_b32_e32 v0, 2, v0
	s_lshl_b64 s[14:15], s[2:3], 4
	v_add_co_u32 v204, s2, s12, v224
	s_delay_alu instid0(VALU_DEP_1) | instskip(NEXT) | instid1(VALU_DEP_3)
	v_add_co_ci_u32_e64 v205, null, s13, 0, s2
	v_lshl_add_u32 v0, v0, 2, v0
	s_delay_alu instid0(VALU_DEP_1) | instskip(NEXT) | instid1(VALU_DEP_1)
	v_sub_nc_u32_e32 v0, v206, v0
	v_mul_u32_u24_e32 v0, 0xa5, v0
	v_mov_b32_e32 v17, v4
	s_clause 0x3
	global_load_b128 v[1:4], v224, s[12:13]
	global_load_b128 v[7:10], v224, s[12:13] offset:240
	global_load_b128 v[11:14], v224, s[12:13] offset:480
	;; [unrolled: 1-line block ×3, first 2 shown]
	v_lshlrev_b64_e32 v[16:17], 4, v[16:17]
	s_delay_alu instid0(VALU_DEP_1) | instskip(SKIP_1) | instid1(VALU_DEP_2)
	v_add_co_u32 v32, vcc_lo, v46, v16
	s_wait_alu 0xfffd
	v_add_co_ci_u32_e32 v33, vcc_lo, v47, v17, vcc_lo
	s_clause 0x1
	global_load_b128 v[15:18], v224, s[12:13] offset:960
	global_load_b128 v[24:27], v224, s[12:13] offset:1200
	s_wait_alu 0xfffe
	v_add_co_u32 v34, vcc_lo, v32, s14
	s_wait_alu 0xfffd
	v_add_co_ci_u32_e32 v35, vcc_lo, s15, v33, vcc_lo
	s_clause 0x1
	global_load_b128 v[28:31], v224, s[12:13] offset:1440
	global_load_b128 v[136:139], v224, s[12:13] offset:1680
	v_add_co_u32 v36, vcc_lo, v34, s14
	s_wait_alu 0xfffd
	v_add_co_ci_u32_e32 v37, vcc_lo, s15, v35, vcc_lo
	s_clause 0x1
	global_load_b128 v[48:51], v[32:33], off
	global_load_b128 v[52:55], v[34:35], off
	v_add_co_u32 v38, vcc_lo, v36, s14
	s_wait_alu 0xfffd
	v_add_co_ci_u32_e32 v39, vcc_lo, s15, v37, vcc_lo
	s_clause 0x1
	global_load_b128 v[56:59], v[36:37], off
	global_load_b128 v[60:63], v[38:39], off
	v_add_co_u32 v32, vcc_lo, v38, s14
	s_wait_alu 0xfffd
	v_add_co_ci_u32_e32 v33, vcc_lo, s15, v39, vcc_lo
	s_delay_alu instid0(VALU_DEP_2) | instskip(SKIP_1) | instid1(VALU_DEP_2)
	v_add_co_u32 v34, vcc_lo, v32, s14
	s_wait_alu 0xfffd
	v_add_co_ci_u32_e32 v35, vcc_lo, s15, v33, vcc_lo
	global_load_b128 v[64:67], v[32:33], off
	v_add_co_u32 v32, vcc_lo, v34, s14
	s_wait_alu 0xfffd
	v_add_co_ci_u32_e32 v33, vcc_lo, s15, v35, vcc_lo
	global_load_b128 v[68:71], v[34:35], off
	;; [unrolled: 4-line block ×5, first 2 shown]
	v_add_co_u32 v44, vcc_lo, v40, s14
	s_wait_alu 0xfffd
	v_add_co_ci_u32_e32 v45, vcc_lo, s15, v41, vcc_lo
	s_clause 0x1
	global_load_b128 v[36:39], v224, s[12:13] offset:1920
	global_load_b128 v[32:35], v224, s[12:13] offset:2160
	global_load_b128 v[84:87], v[40:41], off
	global_load_b128 v[40:43], v224, s[12:13] offset:2400
	global_load_b128 v[88:91], v[44:45], off
	v_cmp_gt_u16_e32 vcc_lo, 4, v6
	s_wait_loadcnt 0x15
	scratch_store_b128 off, v[1:4], off offset:4 ; 16-byte Folded Spill
	s_wait_loadcnt 0x14
	scratch_store_b128 off, v[7:10], off offset:20 ; 16-byte Folded Spill
	;; [unrolled: 2-line block ×8, first 2 shown]
	s_wait_loadcnt 0xd
	v_mul_f64_e32 v[92:93], v[50:51], v[3:4]
	v_mul_f64_e32 v[94:95], v[48:49], v[3:4]
	s_wait_loadcnt 0xc
	v_mul_f64_e32 v[96:97], v[54:55], v[9:10]
	v_mul_f64_e32 v[98:99], v[52:53], v[9:10]
	;; [unrolled: 3-line block ×8, first 2 shown]
	v_fma_f64 v[48:49], v[48:49], v[1:2], v[92:93]
	s_wait_loadcnt 0x4
	v_mul_f64_e32 v[124:125], v[82:83], v[38:39]
	v_mul_f64_e32 v[126:127], v[80:81], v[38:39]
	s_wait_loadcnt 0x2
	v_mul_f64_e32 v[128:129], v[86:87], v[34:35]
	v_mul_f64_e32 v[130:131], v[84:85], v[34:35]
	;; [unrolled: 3-line block ×3, first 2 shown]
	v_fma_f64 v[50:51], v[50:51], v[1:2], -v[94:95]
	v_fma_f64 v[52:53], v[52:53], v[7:8], v[96:97]
	v_fma_f64 v[54:55], v[54:55], v[7:8], -v[98:99]
	v_fma_f64 v[56:57], v[56:57], v[11:12], v[100:101]
	;; [unrolled: 2-line block ×3, first 2 shown]
	v_fma_f64 v[62:63], v[62:63], v[20:21], -v[106:107]
	s_clause 0x1
	scratch_store_b128 off, v[36:39], off offset:148
	scratch_store_b128 off, v[32:35], off offset:132
	s_load_b64 s[10:11], s[0:1], 0x38
	s_load_b128 s[4:7], s[6:7], 0x0
	v_lshlrev_b32_e32 v2, 4, v0
	v_fma_f64 v[64:65], v[64:65], v[15:16], v[108:109]
	v_fma_f64 v[66:67], v[66:67], v[15:16], -v[110:111]
	v_or_b32_e32 v0, 56, v255
	s_delay_alu instid0(VALU_DEP_4)
	v_add_nc_u32_e32 v219, v224, v2
	v_fma_f64 v[68:69], v[68:69], v[24:25], v[112:113]
	v_fma_f64 v[70:71], v[70:71], v[24:25], -v[114:115]
	ds_store_b128 v219, v[48:51]
	ds_store_b128 v219, v[52:55] offset:240
	ds_store_b128 v219, v[56:59] offset:480
	;; [unrolled: 1-line block ×5, first 2 shown]
	v_fma_f64 v[72:73], v[72:73], v[28:29], v[116:117]
	v_fma_f64 v[74:75], v[74:75], v[28:29], -v[118:119]
	v_fma_f64 v[76:77], v[76:77], v[136:137], v[120:121]
	v_fma_f64 v[78:79], v[78:79], v[136:137], -v[122:123]
	;; [unrolled: 2-line block ×5, first 2 shown]
	scratch_store_b32 off, v0, off offset:168 ; 4-byte Folded Spill
	v_or_b32_e32 v0, 0x74, v255
	scratch_store_b32 off, v0, off offset:164 ; 4-byte Folded Spill
	ds_store_b128 v219, v[72:75] offset:1440
	ds_store_b128 v219, v[76:79] offset:1680
	;; [unrolled: 1-line block ×5, first 2 shown]
	s_and_saveexec_b32 s3, vcc_lo
	s_cbranch_execz .LBB0_3
; %bb.2:
	v_or_b32_e32 v1, 56, v255
	v_mad_co_u64_u32 v[44:45], null, 0xfffff750, s8, v[44:45]
	s_mul_i32 s2, s9, 0xfffff750
	v_or_b32_e32 v0, 0x74, v255
	s_delay_alu instid0(VALU_DEP_3)
	v_mad_co_u64_u32 v[56:57], null, s8, v1, 0
	s_wait_alu 0xfffe
	s_sub_co_i32 s2, s2, s8
	s_mul_i32 s16, s9, 0x1e0
	v_mad_co_u64_u32 v[72:73], null, s8, v0, 0
	s_wait_alu 0xfffe
	v_add_nc_u32_e32 v45, s2, v45
	v_add_co_u32 v60, s2, v44, s14
	v_mov_b32_e32 v48, v57
	s_wait_alu 0xf1ff
	s_delay_alu instid0(VALU_DEP_3) | instskip(NEXT) | instid1(VALU_DEP_3)
	v_add_co_ci_u32_e64 v61, s2, s15, v45, s2
	v_add_co_u32 v65, s2, v60, s14
	s_delay_alu instid0(VALU_DEP_3)
	v_mad_co_u64_u32 v[57:58], null, s9, v1, v[48:49]
	s_clause 0x1
	global_load_b128 v[48:51], v[204:205], off offset:176
	global_load_b128 v[52:55], v[204:205], off offset:416
	s_wait_alu 0xf1ff
	v_add_co_ci_u32_e64 v66, s2, s15, v61, s2
	v_lshlrev_b64_e32 v[67:68], 4, v[56:57]
	global_load_b128 v[56:59], v[44:45], off
	global_load_b128 v[60:63], v[60:61], off
	v_mad_co_u64_u32 v[44:45], null, 0x1e0, s8, v[65:66]
	v_mov_b32_e32 v64, v73
	v_add_co_u32 v69, s2, v46, v67
	s_wait_alu 0xf1ff
	v_add_co_ci_u32_e64 v70, s2, v47, v68, s2
	s_delay_alu instid0(VALU_DEP_4) | instskip(SKIP_3) | instid1(VALU_DEP_3)
	v_add_nc_u32_e32 v45, s16, v45
	v_add_co_u32 v84, s2, v44, s14
	v_mad_co_u64_u32 v[73:74], null, s9, v0, v[64:65]
	s_wait_alu 0xf1ff
	v_add_co_ci_u32_e64 v85, s2, s15, v45, s2
	s_delay_alu instid0(VALU_DEP_3)
	v_add_co_u32 v92, s2, v84, s14
	global_load_b128 v[64:67], v[65:66], off
	s_wait_alu 0xf1ff
	v_add_co_ci_u32_e64 v93, s2, s15, v85, s2
	v_lshlrev_b64_e32 v[86:87], 4, v[72:73]
	global_load_b128 v[68:71], v[69:70], off
	s_clause 0x1
	global_load_b128 v[72:75], v[204:205], off offset:656
	global_load_b128 v[76:79], v[204:205], off offset:896
	global_load_b128 v[80:83], v[44:45], off
	v_mad_co_u64_u32 v[108:109], null, 0x1e0, s8, v[92:93]
	v_add_co_u32 v96, s2, v46, v86
	s_wait_alu 0xf1ff
	v_add_co_ci_u32_e64 v97, s2, v47, v87, s2
	global_load_b128 v[44:47], v[84:85], off
	s_clause 0x1
	global_load_b128 v[84:87], v[204:205], off offset:1136
	global_load_b128 v[88:91], v[204:205], off offset:1376
	global_load_b128 v[92:95], v[92:93], off
	global_load_b128 v[96:99], v[96:97], off
	v_add_nc_u32_e32 v109, s16, v109
	v_add_co_u32 v116, s2, v108, s14
	s_clause 0x1
	global_load_b128 v[100:103], v[204:205], off offset:1616
	global_load_b128 v[104:107], v[204:205], off offset:1856
	s_wait_alu 0xf1ff
	v_add_co_ci_u32_e64 v117, s2, s15, v109, s2
	v_add_co_u32 v128, s2, v116, s14
	global_load_b128 v[108:111], v[108:109], off
	s_wait_alu 0xf1ff
	v_add_co_ci_u32_e64 v129, s2, s15, v117, s2
	global_load_b128 v[112:115], v[204:205], off offset:2096
	global_load_b128 v[116:119], v[116:117], off
	s_clause 0x1
	global_load_b128 v[120:123], v[204:205], off offset:2336
	global_load_b128 v[124:127], v[204:205], off offset:2576
	global_load_b128 v[128:131], v[128:129], off
	s_wait_loadcnt 0x13
	v_mul_f64_e32 v[132:133], v[58:59], v[50:51]
	v_mul_f64_e32 v[50:51], v[56:57], v[50:51]
	s_wait_loadcnt 0x12
	v_mul_f64_e32 v[134:135], v[62:63], v[54:55]
	v_mul_f64_e32 v[136:137], v[60:61], v[54:55]
	;; [unrolled: 3-line block ×8, first 2 shown]
	v_fma_f64 v[54:55], v[56:57], v[48:49], v[132:133]
	v_fma_f64 v[56:57], v[58:59], v[48:49], -v[50:51]
	v_fma_f64 v[48:49], v[60:61], v[52:53], v[134:135]
	s_wait_loadcnt 0x4
	v_mul_f64_e32 v[150:151], v[110:111], v[114:115]
	v_mul_f64_e32 v[114:115], v[108:109], v[114:115]
	s_wait_loadcnt 0x2
	v_mul_f64_e32 v[152:153], v[118:119], v[122:123]
	v_mul_f64_e32 v[122:123], v[116:117], v[122:123]
	;; [unrolled: 3-line block ×3, first 2 shown]
	v_fma_f64 v[50:51], v[62:63], v[52:53], -v[136:137]
	v_fma_f64 v[58:59], v[64:65], v[72:73], v[138:139]
	v_fma_f64 v[60:61], v[66:67], v[72:73], -v[74:75]
	v_fma_f64 v[66:67], v[68:69], v[76:77], v[142:143]
	;; [unrolled: 2-line block ×9, first 2 shown]
	v_fma_f64 v[88:89], v[130:131], v[124:125], -v[126:127]
	ds_store_b128 v219, v[54:57] offset:176
	ds_store_b128 v219, v[48:51] offset:416
	;; [unrolled: 1-line block ×11, first 2 shown]
.LBB0_3:
	s_wait_alu 0xfffe
	s_or_b32 exec_lo, exec_lo, s3
	scratch_store_b32 off, v2, off          ; 4-byte Folded Spill
	global_wb scope:SCOPE_SE
	s_wait_storecnt_dscnt 0x0
	s_wait_kmcnt 0x0
	s_barrier_signal -1
	s_barrier_wait -1
	global_inv scope:SCOPE_SE
	ds_load_b128 v[44:47], v219
	ds_load_b128 v[52:55], v219 offset:240
	ds_load_b128 v[72:75], v219 offset:480
	;; [unrolled: 1-line block ×10, first 2 shown]
	s_load_b64 s[2:3], s[0:1], 0x8
                                        ; implicit-def: $vgpr56_vgpr57
                                        ; implicit-def: $vgpr60_vgpr61
                                        ; implicit-def: $vgpr92_vgpr93
                                        ; implicit-def: $vgpr104_vgpr105
                                        ; implicit-def: $vgpr112_vgpr113
                                        ; implicit-def: $vgpr108_vgpr109
                                        ; implicit-def: $vgpr100_vgpr101
                                        ; implicit-def: $vgpr96_vgpr97
                                        ; implicit-def: $vgpr76_vgpr77
                                        ; implicit-def: $vgpr64_vgpr65
                                        ; implicit-def: $vgpr88_vgpr89
	s_and_saveexec_b32 s0, vcc_lo
	s_cbranch_execz .LBB0_5
; %bb.4:
	ds_load_b128 v[56:59], v219 offset:176
	ds_load_b128 v[60:63], v219 offset:416
	;; [unrolled: 1-line block ×11, first 2 shown]
.LBB0_5:
	s_wait_alu 0xfffe
	s_or_b32 exec_lo, exec_lo, s0
	s_wait_dscnt 0x9
	v_add_f64_e32 v[132:133], v[44:45], v[52:53]
	v_add_f64_e32 v[134:135], v[46:47], v[54:55]
	s_wait_dscnt 0x4
	v_add_f64_e32 v[136:137], v[128:129], v[124:125]
	v_add_f64_e32 v[138:139], v[130:131], v[126:127]
	v_add_f64_e64 v[140:141], v[128:129], -v[124:125]
	v_add_f64_e64 v[142:143], v[130:131], -v[126:127]
	s_wait_dscnt 0x3
	v_add_f64_e32 v[144:145], v[120:121], v[116:117]
	v_add_f64_e32 v[146:147], v[122:123], v[118:119]
	v_add_f64_e64 v[148:149], v[120:121], -v[116:117]
	v_add_f64_e64 v[150:151], v[122:123], -v[118:119]
	s_wait_dscnt 0x2
	v_add_f64_e32 v[152:153], v[84:85], v[80:81]
	v_add_f64_e32 v[154:155], v[86:87], v[82:83]
	s_mov_b32 s26, 0xf8bb580b
	s_mov_b32 s28, 0x8eee2c13
	;; [unrolled: 1-line block ×26, first 2 shown]
	v_add_f64_e32 v[132:133], v[132:133], v[72:73]
	v_add_f64_e32 v[134:135], v[134:135], v[74:75]
	s_mov_b32 s39, 0x3fed1bb4
	s_mov_b32 s38, s28
	s_wait_dscnt 0x0
	v_add_f64_e32 v[182:183], v[62:63], v[90:91]
	v_mul_f64_e32 v[178:179], s[24:25], v[142:143]
	v_add_f64_e64 v[225:226], v[106:107], -v[78:79]
	v_add_f64_e64 v[251:252], v[104:105], -v[76:77]
	v_mul_f64_e32 v[176:177], s[22:23], v[148:149]
	v_add_f64_e64 v[253:254], v[114:115], -v[98:99]
	v_add_f64_e64 v[222:223], v[112:113], -v[96:97]
	;; [unrolled: 1-line block ×4, first 2 shown]
	scratch_load_b32 v22, off, off          ; 4-byte Folded Reload
	global_wb scope:SCOPE_SE
	s_wait_loadcnt 0x0
	s_wait_kmcnt 0x0
	s_barrier_signal -1
	s_barrier_wait -1
	global_inv scope:SCOPE_SE
	v_add_f64_e32 v[132:133], v[132:133], v[84:85]
	v_add_f64_e32 v[134:135], v[134:135], v[86:87]
	v_add_f64_e64 v[84:85], v[84:85], -v[80:81]
	v_add_f64_e64 v[86:87], v[86:87], -v[82:83]
	v_mul_f64_e32 v[184:185], s[36:37], v[225:226]
	v_mul_f64_e32 v[186:187], s[36:37], v[251:252]
	;; [unrolled: 1-line block ×11, first 2 shown]
	v_add_f64_e32 v[132:133], v[132:133], v[120:121]
	v_add_f64_e32 v[134:135], v[134:135], v[122:123]
	v_add_f64_e64 v[120:121], v[54:55], -v[50:51]
	v_add_f64_e32 v[122:123], v[52:53], v[48:49]
	v_add_f64_e32 v[54:55], v[54:55], v[50:51]
	v_add_f64_e64 v[52:53], v[52:53], -v[48:49]
	v_add_f64_e32 v[132:133], v[132:133], v[128:129]
	v_add_f64_e32 v[134:135], v[134:135], v[130:131]
	s_delay_alu instid0(VALU_DEP_3) | instskip(SKIP_1) | instid1(VALU_DEP_4)
	v_mul_f64_e32 v[156:157], s[20:21], v[52:53]
	v_mul_f64_e32 v[158:159], s[22:23], v[52:53]
	v_add_f64_e32 v[124:125], v[132:133], v[124:125]
	s_delay_alu instid0(VALU_DEP_4)
	v_add_f64_e32 v[126:127], v[134:135], v[126:127]
	v_mul_f64_e32 v[134:135], s[28:29], v[52:53]
	s_wait_alu 0xfffe
	v_fma_f64 v[164:165], v[54:55], s[16:17], v[156:157]
	v_fma_f64 v[156:157], v[54:55], s[16:17], -v[156:157]
	v_fma_f64 v[166:167], v[54:55], s[8:9], v[158:159]
	v_fma_f64 v[158:159], v[54:55], s[8:9], -v[158:159]
	v_add_f64_e32 v[116:117], v[124:125], v[116:117]
	v_add_f64_e32 v[118:119], v[126:127], v[118:119]
	v_fma_f64 v[162:163], v[54:55], s[18:19], v[134:135]
	v_fma_f64 v[134:135], v[54:55], s[18:19], -v[134:135]
	v_add_f64_e32 v[164:165], v[46:47], v[164:165]
	v_add_f64_e32 v[156:157], v[46:47], v[156:157]
	;; [unrolled: 1-line block ×8, first 2 shown]
	v_add_f64_e64 v[72:73], v[72:73], -v[68:69]
	v_add_f64_e64 v[74:75], v[74:75], -v[70:71]
	v_add_f64_e32 v[162:163], v[46:47], v[162:163]
	v_add_f64_e32 v[134:135], v[46:47], v[134:135]
	;; [unrolled: 1-line block ×4, first 2 shown]
	s_delay_alu instid0(VALU_DEP_2) | instskip(NEXT) | instid1(VALU_DEP_2)
	v_add_f64_e32 v[116:117], v[68:69], v[48:49]
	v_add_f64_e32 v[118:119], v[70:71], v[50:51]
	v_mul_f64_e32 v[48:49], s[26:27], v[120:121]
	v_mul_f64_e32 v[50:51], s[28:29], v[120:121]
	;; [unrolled: 1-line block ×5, first 2 shown]
	v_fma_f64 v[124:125], v[122:123], s[0:1], -v[48:49]
	v_fma_f64 v[48:49], v[122:123], s[0:1], v[48:49]
	v_fma_f64 v[126:127], v[122:123], s[18:19], -v[50:51]
	v_fma_f64 v[50:51], v[122:123], s[18:19], v[50:51]
	;; [unrolled: 2-line block ×5, first 2 shown]
	v_mul_f64_e32 v[122:123], s[26:27], v[52:53]
	v_mul_f64_e32 v[52:53], s[24:25], v[52:53]
	v_add_f64_e32 v[48:49], v[44:45], v[48:49]
	v_add_f64_e32 v[50:51], v[44:45], v[50:51]
	;; [unrolled: 1-line block ×7, first 2 shown]
	v_mul_f64_e32 v[128:129], s[20:21], v[86:87]
	v_fma_f64 v[160:161], v[54:55], s[0:1], v[122:123]
	v_fma_f64 v[122:123], v[54:55], s[0:1], -v[122:123]
	v_fma_f64 v[168:169], v[54:55], s[14:15], v[52:53]
	v_fma_f64 v[52:53], v[54:55], s[14:15], -v[52:53]
	v_add_f64_e32 v[54:55], v[44:45], v[124:125]
	v_mul_f64_e32 v[130:131], s[20:21], v[84:85]
	v_mul_f64_e32 v[132:133], s[22:23], v[150:151]
	v_add_f64_e32 v[124:125], v[46:47], v[160:161]
	v_add_f64_e32 v[122:123], v[46:47], v[122:123]
	;; [unrolled: 1-line block ×4, first 2 shown]
	v_mul_f64_e32 v[52:53], s[28:29], v[74:75]
	v_add_f64_e32 v[160:161], v[44:45], v[126:127]
	v_add_f64_e32 v[44:45], v[44:45], v[120:121]
	s_delay_alu instid0(VALU_DEP_3) | instskip(SKIP_1) | instid1(VALU_DEP_2)
	v_fma_f64 v[120:121], v[80:81], s[18:19], -v[52:53]
	v_fma_f64 v[52:53], v[80:81], s[18:19], v[52:53]
	v_add_f64_e32 v[54:55], v[120:121], v[54:55]
	v_mul_f64_e32 v[120:121], s[28:29], v[72:73]
	s_delay_alu instid0(VALU_DEP_3) | instskip(NEXT) | instid1(VALU_DEP_2)
	v_add_f64_e32 v[48:49], v[52:53], v[48:49]
	v_fma_f64 v[126:127], v[82:83], s[18:19], v[120:121]
	v_fma_f64 v[52:53], v[82:83], s[18:19], -v[120:121]
	v_fma_f64 v[120:121], v[152:153], s[16:17], v[128:129]
	s_delay_alu instid0(VALU_DEP_3) | instskip(SKIP_1) | instid1(VALU_DEP_4)
	v_add_f64_e32 v[124:125], v[126:127], v[124:125]
	v_fma_f64 v[126:127], v[152:153], s[16:17], -v[128:129]
	v_add_f64_e32 v[52:53], v[52:53], v[122:123]
	s_delay_alu instid0(VALU_DEP_4) | instskip(SKIP_1) | instid1(VALU_DEP_4)
	v_add_f64_e32 v[48:49], v[120:121], v[48:49]
	v_fma_f64 v[120:121], v[154:155], s[16:17], -v[130:131]
	v_add_f64_e32 v[54:55], v[126:127], v[54:55]
	v_fma_f64 v[126:127], v[154:155], s[16:17], v[130:131]
	s_delay_alu instid0(VALU_DEP_3) | instskip(SKIP_1) | instid1(VALU_DEP_3)
	v_add_f64_e32 v[52:53], v[120:121], v[52:53]
	v_fma_f64 v[120:121], v[144:145], s[8:9], v[132:133]
	v_add_f64_e32 v[124:125], v[126:127], v[124:125]
	v_fma_f64 v[126:127], v[144:145], s[8:9], -v[132:133]
	v_mul_f64_e32 v[132:133], s[36:37], v[86:87]
	s_delay_alu instid0(VALU_DEP_4) | instskip(SKIP_1) | instid1(VALU_DEP_4)
	v_add_f64_e32 v[48:49], v[120:121], v[48:49]
	v_fma_f64 v[120:121], v[146:147], s[8:9], -v[176:177]
	v_add_f64_e32 v[54:55], v[126:127], v[54:55]
	v_fma_f64 v[126:127], v[146:147], s[8:9], v[176:177]
	v_fma_f64 v[130:131], v[152:153], s[14:15], -v[132:133]
	s_delay_alu instid0(VALU_DEP_4)
	v_add_f64_e32 v[52:53], v[120:121], v[52:53]
	v_fma_f64 v[120:121], v[136:137], s[14:15], v[178:179]
	v_mul_f64_e32 v[176:177], s[34:35], v[148:149]
	v_add_f64_e32 v[126:127], v[126:127], v[124:125]
	v_fma_f64 v[124:125], v[136:137], s[14:15], -v[178:179]
	v_mul_f64_e32 v[178:179], s[30:31], v[142:143]
	v_add_f64_e32 v[120:121], v[120:121], v[48:49]
	v_mul_f64_e32 v[48:49], s[22:23], v[74:75]
	s_delay_alu instid0(VALU_DEP_4) | instskip(SKIP_1) | instid1(VALU_DEP_1)
	v_add_f64_e32 v[124:125], v[124:125], v[54:55]
	v_mul_f64_e32 v[54:55], s[24:25], v[140:141]
	v_fma_f64 v[180:181], v[138:139], s[14:15], v[54:55]
	v_fma_f64 v[54:55], v[138:139], s[14:15], -v[54:55]
	s_delay_alu instid0(VALU_DEP_2) | instskip(NEXT) | instid1(VALU_DEP_2)
	v_add_f64_e32 v[126:127], v[180:181], v[126:127]
	v_add_f64_e32 v[122:123], v[54:55], v[52:53]
	v_fma_f64 v[52:53], v[80:81], s[8:9], -v[48:49]
	v_mul_f64_e32 v[54:55], s[22:23], v[72:73]
	v_fma_f64 v[48:49], v[80:81], s[8:9], v[48:49]
	s_delay_alu instid0(VALU_DEP_3) | instskip(NEXT) | instid1(VALU_DEP_3)
	v_add_f64_e32 v[52:53], v[52:53], v[160:161]
	v_fma_f64 v[128:129], v[82:83], s[8:9], v[54:55]
	v_mul_f64_e32 v[160:161], s[36:37], v[84:85]
	s_delay_alu instid0(VALU_DEP_4)
	v_add_f64_e32 v[48:49], v[48:49], v[50:51]
	v_fma_f64 v[50:51], v[82:83], s[8:9], -v[54:55]
	v_fma_f64 v[54:55], v[152:153], s[14:15], v[132:133]
	v_add_f64_e32 v[52:53], v[130:131], v[52:53]
	v_add_f64_e32 v[128:129], v[128:129], v[162:163]
	v_fma_f64 v[130:131], v[154:155], s[14:15], v[160:161]
	v_mul_f64_e32 v[162:163], s[34:35], v[150:151]
	v_add_f64_e32 v[50:51], v[50:51], v[134:135]
	v_add_f64_e32 v[48:49], v[54:55], v[48:49]
	v_fma_f64 v[54:55], v[154:155], s[14:15], -v[160:161]
	v_mul_f64_e32 v[160:161], s[38:39], v[86:87]
	v_add_f64_e32 v[128:129], v[130:131], v[128:129]
	v_fma_f64 v[130:131], v[144:145], s[16:17], -v[162:163]
	s_delay_alu instid0(VALU_DEP_4) | instskip(SKIP_2) | instid1(VALU_DEP_4)
	v_add_f64_e32 v[50:51], v[54:55], v[50:51]
	v_fma_f64 v[54:55], v[144:145], s[16:17], v[162:163]
	v_fma_f64 v[162:163], v[152:153], s[18:19], -v[160:161]
	v_add_f64_e32 v[52:53], v[130:131], v[52:53]
	v_fma_f64 v[130:131], v[146:147], s[16:17], v[176:177]
	s_delay_alu instid0(VALU_DEP_4) | instskip(SKIP_1) | instid1(VALU_DEP_3)
	v_add_f64_e32 v[48:49], v[54:55], v[48:49]
	v_fma_f64 v[54:55], v[146:147], s[16:17], -v[176:177]
	v_add_f64_e32 v[130:131], v[130:131], v[128:129]
	v_fma_f64 v[128:129], v[136:137], s[0:1], -v[178:179]
	s_delay_alu instid0(VALU_DEP_3) | instskip(SKIP_1) | instid1(VALU_DEP_3)
	v_add_f64_e32 v[50:51], v[54:55], v[50:51]
	v_fma_f64 v[54:55], v[136:137], s[0:1], v[178:179]
	v_add_f64_e32 v[128:129], v[128:129], v[52:53]
	v_mul_f64_e32 v[52:53], s[30:31], v[140:141]
	s_delay_alu instid0(VALU_DEP_3) | instskip(SKIP_1) | instid1(VALU_DEP_3)
	v_add_f64_e32 v[132:133], v[54:55], v[48:49]
	v_mul_f64_e32 v[48:49], s[36:37], v[74:75]
	v_fma_f64 v[180:181], v[138:139], s[0:1], v[52:53]
	v_fma_f64 v[52:53], v[138:139], s[0:1], -v[52:53]
	s_delay_alu instid0(VALU_DEP_2) | instskip(NEXT) | instid1(VALU_DEP_2)
	v_add_f64_e32 v[130:131], v[180:181], v[130:131]
	v_add_f64_e32 v[134:135], v[52:53], v[50:51]
	v_fma_f64 v[50:51], v[80:81], s[14:15], -v[48:49]
	v_mul_f64_e32 v[52:53], s[36:37], v[72:73]
	v_fma_f64 v[48:49], v[80:81], s[14:15], v[48:49]
	v_add_f64_e32 v[180:181], v[94:95], v[66:67]
	s_delay_alu instid0(VALU_DEP_4) | instskip(NEXT) | instid1(VALU_DEP_4)
	v_add_f64_e32 v[50:51], v[50:51], v[170:171]
	v_fma_f64 v[54:55], v[82:83], s[14:15], v[52:53]
	s_delay_alu instid0(VALU_DEP_4)
	v_add_f64_e32 v[48:49], v[48:49], v[68:69]
	v_fma_f64 v[52:53], v[82:83], s[14:15], -v[52:53]
	v_mul_f64_e32 v[68:69], s[26:27], v[86:87]
	v_add_f64_e32 v[50:51], v[162:163], v[50:51]
	v_mul_f64_e32 v[162:163], s[38:39], v[84:85]
	v_add_f64_e32 v[54:55], v[54:55], v[164:165]
	v_add_f64_e32 v[52:53], v[52:53], v[156:157]
	v_fma_f64 v[156:157], v[152:153], s[0:1], -v[68:69]
	s_delay_alu instid0(VALU_DEP_4) | instskip(NEXT) | instid1(VALU_DEP_1)
	v_fma_f64 v[164:165], v[154:155], s[18:19], v[162:163]
	v_add_f64_e32 v[54:55], v[164:165], v[54:55]
	v_mul_f64_e32 v[164:165], s[26:27], v[150:151]
	s_delay_alu instid0(VALU_DEP_1) | instskip(NEXT) | instid1(VALU_DEP_1)
	v_fma_f64 v[170:171], v[144:145], s[0:1], -v[164:165]
	v_add_f64_e32 v[50:51], v[170:171], v[50:51]
	v_mul_f64_e32 v[170:171], s[26:27], v[148:149]
	s_delay_alu instid0(VALU_DEP_1) | instskip(NEXT) | instid1(VALU_DEP_1)
	v_fma_f64 v[176:177], v[146:147], s[0:1], v[170:171]
	v_add_f64_e32 v[54:55], v[176:177], v[54:55]
	v_mul_f64_e32 v[176:177], s[22:23], v[142:143]
	s_delay_alu instid0(VALU_DEP_1) | instskip(NEXT) | instid1(VALU_DEP_1)
	v_fma_f64 v[178:179], v[136:137], s[8:9], -v[176:177]
	v_add_f64_e32 v[227:228], v[178:179], v[50:51]
	v_mul_f64_e32 v[50:51], s[22:23], v[140:141]
	s_delay_alu instid0(VALU_DEP_1) | instskip(SKIP_1) | instid1(VALU_DEP_2)
	v_fma_f64 v[178:179], v[138:139], s[8:9], v[50:51]
	v_fma_f64 v[50:51], v[138:139], s[8:9], -v[50:51]
	v_add_f64_e32 v[229:230], v[178:179], v[54:55]
	v_fma_f64 v[54:55], v[152:153], s[18:19], v[160:161]
	v_mul_f64_e32 v[178:179], s[34:35], v[222:223]
	s_delay_alu instid0(VALU_DEP_2) | instskip(SKIP_1) | instid1(VALU_DEP_1)
	v_add_f64_e32 v[48:49], v[54:55], v[48:49]
	v_fma_f64 v[54:55], v[154:155], s[18:19], -v[162:163]
	v_add_f64_e32 v[52:53], v[54:55], v[52:53]
	v_fma_f64 v[54:55], v[144:145], s[0:1], v[164:165]
	s_delay_alu instid0(VALU_DEP_1) | instskip(SKIP_2) | instid1(VALU_DEP_2)
	v_add_f64_e32 v[48:49], v[54:55], v[48:49]
	v_fma_f64 v[54:55], v[146:147], s[0:1], -v[170:171]
	v_add_f64_e32 v[170:171], v[60:61], v[88:89]
	v_add_f64_e32 v[52:53], v[54:55], v[52:53]
	v_fma_f64 v[54:55], v[136:137], s[8:9], v[176:177]
	v_add_f64_e32 v[176:177], v[106:107], v[78:79]
	s_delay_alu instid0(VALU_DEP_3) | instskip(NEXT) | instid1(VALU_DEP_3)
	v_add_f64_e32 v[233:234], v[50:51], v[52:53]
	v_add_f64_e32 v[231:232], v[54:55], v[48:49]
	v_mul_f64_e32 v[48:49], s[34:35], v[74:75]
	v_mul_f64_e32 v[52:53], s[34:35], v[72:73]
	v_fma_f64 v[14:15], v[176:177], s[0:1], v[12:13]
	s_delay_alu instid0(VALU_DEP_3) | instskip(NEXT) | instid1(VALU_DEP_3)
	v_fma_f64 v[50:51], v[80:81], s[16:17], -v[48:49]
	v_fma_f64 v[54:55], v[82:83], s[16:17], v[52:53]
	v_fma_f64 v[48:49], v[80:81], s[16:17], v[48:49]
	v_fma_f64 v[52:53], v[82:83], s[16:17], -v[52:53]
	s_delay_alu instid0(VALU_DEP_4) | instskip(NEXT) | instid1(VALU_DEP_4)
	v_add_f64_e32 v[50:51], v[50:51], v[172:173]
	v_add_f64_e32 v[54:55], v[54:55], v[166:167]
	s_delay_alu instid0(VALU_DEP_4) | instskip(NEXT) | instid1(VALU_DEP_4)
	v_add_f64_e32 v[48:49], v[48:49], v[70:71]
	v_add_f64_e32 v[52:53], v[52:53], v[158:159]
	;; [unrolled: 1-line block ×5, first 2 shown]
	v_mul_f64_e32 v[156:157], s[26:27], v[84:85]
	s_delay_alu instid0(VALU_DEP_4) | instskip(NEXT) | instid1(VALU_DEP_2)
	v_fma_f64 v[10:11], v[172:173], s[0:1], -v[8:9]
	v_fma_f64 v[160:161], v[154:155], s[0:1], v[156:157]
	s_delay_alu instid0(VALU_DEP_1) | instskip(SKIP_1) | instid1(VALU_DEP_1)
	v_add_f64_e32 v[54:55], v[160:161], v[54:55]
	v_mul_f64_e32 v[160:161], s[24:25], v[150:151]
	v_fma_f64 v[162:163], v[144:145], s[14:15], -v[160:161]
	s_delay_alu instid0(VALU_DEP_1) | instskip(SKIP_1) | instid1(VALU_DEP_1)
	v_add_f64_e32 v[50:51], v[162:163], v[50:51]
	v_mul_f64_e32 v[162:163], s[24:25], v[148:149]
	v_fma_f64 v[164:165], v[146:147], s[14:15], v[162:163]
	s_delay_alu instid0(VALU_DEP_1) | instskip(SKIP_1) | instid1(VALU_DEP_1)
	v_add_f64_e32 v[54:55], v[164:165], v[54:55]
	v_mul_f64_e32 v[164:165], s[38:39], v[142:143]
	v_fma_f64 v[166:167], v[136:137], s[18:19], -v[164:165]
	s_delay_alu instid0(VALU_DEP_1) | instskip(SKIP_1) | instid1(VALU_DEP_1)
	v_add_f64_e32 v[235:236], v[166:167], v[50:51]
	v_mul_f64_e32 v[50:51], s[38:39], v[140:141]
	v_fma_f64 v[166:167], v[138:139], s[18:19], v[50:51]
	v_fma_f64 v[50:51], v[138:139], s[18:19], -v[50:51]
	s_delay_alu instid0(VALU_DEP_2) | instskip(SKIP_4) | instid1(VALU_DEP_4)
	v_add_f64_e32 v[237:238], v[166:167], v[54:55]
	v_fma_f64 v[54:55], v[152:153], s[0:1], v[68:69]
	v_mul_f64_e32 v[68:69], s[22:23], v[86:87]
	v_mul_f64_e32 v[86:87], s[20:21], v[140:141]
	v_add_f64_e32 v[166:167], v[92:93], v[64:65]
	v_add_f64_e32 v[48:49], v[54:55], v[48:49]
	v_fma_f64 v[54:55], v[154:155], s[0:1], -v[156:157]
	v_fma_f64 v[70:71], v[152:153], s[8:9], -v[68:69]
	s_delay_alu instid0(VALU_DEP_2) | instskip(SKIP_2) | instid1(VALU_DEP_2)
	v_add_f64_e32 v[52:53], v[54:55], v[52:53]
	v_fma_f64 v[54:55], v[144:145], s[14:15], v[160:161]
	v_mul_f64_e32 v[160:161], s[30:31], v[220:221]
	v_add_f64_e32 v[48:49], v[54:55], v[48:49]
	v_fma_f64 v[54:55], v[146:147], s[14:15], -v[162:163]
	v_add_f64_e32 v[162:163], v[114:115], v[98:99]
	s_delay_alu instid0(VALU_DEP_2) | instskip(SKIP_2) | instid1(VALU_DEP_4)
	v_add_f64_e32 v[52:53], v[54:55], v[52:53]
	v_fma_f64 v[54:55], v[136:137], s[18:19], v[164:165]
	v_mul_f64_e32 v[164:165], s[30:31], v[0:1]
	v_fma_f64 v[18:19], v[162:163], s[14:15], v[16:17]
	s_delay_alu instid0(VALU_DEP_4) | instskip(NEXT) | instid1(VALU_DEP_4)
	v_add_f64_e32 v[241:242], v[50:51], v[52:53]
	v_add_f64_e32 v[239:240], v[54:55], v[48:49]
	v_mul_f64_e32 v[48:49], s[30:31], v[74:75]
	v_mul_f64_e32 v[52:53], s[30:31], v[72:73]
	s_delay_alu instid0(VALU_DEP_2) | instskip(NEXT) | instid1(VALU_DEP_2)
	v_fma_f64 v[50:51], v[80:81], s[0:1], -v[48:49]
	v_fma_f64 v[54:55], v[82:83], s[0:1], v[52:53]
	v_fma_f64 v[48:49], v[80:81], s[0:1], v[48:49]
	v_add_f64_e64 v[80:81], v[62:63], -v[90:91]
	s_delay_alu instid0(VALU_DEP_4) | instskip(NEXT) | instid1(VALU_DEP_4)
	v_add_f64_e32 v[50:51], v[50:51], v[174:175]
	v_add_f64_e32 v[54:55], v[54:55], v[168:169]
	s_delay_alu instid0(VALU_DEP_4) | instskip(NEXT) | instid1(VALU_DEP_4)
	v_add_f64_e32 v[44:45], v[48:49], v[44:45]
	v_mul_f64_e32 v[198:199], s[28:29], v[80:81]
	v_mul_f64_e32 v[174:175], s[34:35], v[253:254]
	;; [unrolled: 1-line block ×3, first 2 shown]
	v_add_f64_e32 v[50:51], v[70:71], v[50:51]
	v_mul_f64_e32 v[70:71], s[22:23], v[84:85]
	s_delay_alu instid0(VALU_DEP_1) | instskip(NEXT) | instid1(VALU_DEP_1)
	v_fma_f64 v[72:73], v[154:155], s[8:9], v[70:71]
	v_add_f64_e32 v[54:55], v[72:73], v[54:55]
	v_mul_f64_e32 v[72:73], s[38:39], v[150:151]
	v_add_f64_e32 v[150:151], v[108:109], v[100:101]
	s_delay_alu instid0(VALU_DEP_2) | instskip(SKIP_2) | instid1(VALU_DEP_3)
	v_fma_f64 v[74:75], v[144:145], s[18:19], -v[72:73]
	v_fma_f64 v[48:49], v[144:145], s[18:19], v[72:73]
	v_mul_f64_e32 v[144:145], s[20:21], v[225:226]
	v_add_f64_e32 v[50:51], v[74:75], v[50:51]
	v_mul_f64_e32 v[74:75], s[38:39], v[148:149]
	v_mul_f64_e32 v[148:149], s[20:21], v[251:252]
	s_delay_alu instid0(VALU_DEP_2) | instskip(NEXT) | instid1(VALU_DEP_1)
	v_fma_f64 v[84:85], v[146:147], s[18:19], v[74:75]
	v_add_f64_e32 v[54:55], v[84:85], v[54:55]
	v_mul_f64_e32 v[84:85], s[20:21], v[142:143]
	v_mul_f64_e32 v[142:143], s[22:23], v[222:223]
	s_delay_alu instid0(VALU_DEP_2) | instskip(NEXT) | instid1(VALU_DEP_1)
	v_fma_f64 v[140:141], v[136:137], s[16:17], -v[84:85]
	v_add_f64_e32 v[243:244], v[140:141], v[50:51]
	v_fma_f64 v[50:51], v[138:139], s[16:17], v[86:87]
	v_mul_f64_e32 v[140:141], s[24:25], v[0:1]
	s_delay_alu instid0(VALU_DEP_2)
	v_add_f64_e32 v[245:246], v[50:51], v[54:55]
	v_fma_f64 v[50:51], v[82:83], s[0:1], -v[52:53]
	v_fma_f64 v[52:53], v[152:153], s[8:9], v[68:69]
	v_fma_f64 v[54:55], v[154:155], s[8:9], -v[70:71]
	v_mul_f64_e32 v[154:155], s[26:27], v[80:81]
	v_add_f64_e64 v[82:83], v[94:95], -v[66:67]
	v_add_f64_e32 v[152:153], v[110:111], v[102:103]
	v_add_f64_e32 v[46:47], v[50:51], v[46:47]
	v_add_f64_e32 v[44:45], v[52:53], v[44:45]
	v_fma_f64 v[50:51], v[146:147], s[18:19], -v[74:75]
	v_fma_f64 v[52:53], v[136:137], s[16:17], v[84:85]
	v_mul_f64_e32 v[146:147], s[28:29], v[82:83]
	v_add_f64_e64 v[84:85], v[60:61], -v[88:89]
	v_mul_f64_e32 v[136:137], s[24:25], v[220:221]
	v_fma_f64 v[2:3], v[152:153], s[14:15], -v[140:141]
	v_mul_f64_e32 v[190:191], s[22:23], v[82:83]
	v_mul_f64_e32 v[211:212], s[36:37], v[82:83]
	;; [unrolled: 1-line block ×3, first 2 shown]
	v_add_f64_e32 v[46:47], v[54:55], v[46:47]
	v_add_f64_e32 v[44:45], v[48:49], v[44:45]
	v_fma_f64 v[54:55], v[138:139], s[16:17], -v[86:87]
	v_add_f64_e64 v[86:87], v[92:93], -v[64:65]
	v_mul_f64_e32 v[138:139], s[22:23], v[253:254]
	v_mul_f64_e32 v[168:169], s[26:27], v[84:85]
	;; [unrolled: 1-line block ×5, first 2 shown]
	v_fma_f64 v[70:71], v[166:167], s[16:17], -v[72:73]
	v_add_f64_e32 v[46:47], v[50:51], v[46:47]
	v_add_f64_e32 v[247:248], v[52:53], v[44:45]
	v_fma_f64 v[44:45], v[170:171], s[0:1], v[154:155]
	v_mul_f64_e32 v[156:157], s[28:29], v[86:87]
	v_mul_f64_e32 v[194:195], s[22:23], v[86:87]
	v_fma_f64 v[52:53], v[166:167], s[14:15], v[211:212]
	v_mul_f64_e32 v[213:214], s[36:37], v[86:87]
	v_mul_f64_e32 v[4:5], s[34:35], v[86:87]
	v_add_f64_e32 v[249:250], v[54:55], v[46:47]
	v_fma_f64 v[46:47], v[166:167], s[18:19], v[146:147]
	v_add_f64_e32 v[44:45], v[56:57], v[44:45]
	v_fma_f64 v[48:49], v[180:181], s[18:19], -v[156:157]
	v_fma_f64 v[50:51], v[180:181], s[8:9], -v[194:195]
	;; [unrolled: 1-line block ×3, first 2 shown]
	v_fma_f64 v[6:7], v[180:181], s[16:17], v[4:5]
	v_fma_f64 v[4:5], v[180:181], s[16:17], -v[4:5]
	v_add_f64_e32 v[44:45], v[46:47], v[44:45]
	v_fma_f64 v[46:47], v[182:183], s[0:1], -v[168:169]
	s_delay_alu instid0(VALU_DEP_1) | instskip(NEXT) | instid1(VALU_DEP_1)
	v_add_f64_e32 v[46:47], v[58:59], v[46:47]
	v_add_f64_e32 v[46:47], v[48:49], v[46:47]
	v_fma_f64 v[48:49], v[172:173], s[16:17], v[144:145]
	s_delay_alu instid0(VALU_DEP_1) | instskip(SKIP_1) | instid1(VALU_DEP_1)
	v_add_f64_e32 v[44:45], v[48:49], v[44:45]
	v_fma_f64 v[48:49], v[176:177], s[16:17], -v[148:149]
	v_add_f64_e32 v[46:47], v[48:49], v[46:47]
	v_fma_f64 v[48:49], v[158:159], s[8:9], v[138:139]
	s_delay_alu instid0(VALU_DEP_1) | instskip(SKIP_1) | instid1(VALU_DEP_1)
	v_add_f64_e32 v[44:45], v[48:49], v[44:45]
	v_fma_f64 v[48:49], v[162:163], s[8:9], -v[142:143]
	v_add_f64_e32 v[46:47], v[48:49], v[46:47]
	v_fma_f64 v[48:49], v[150:151], s[14:15], v[136:137]
	s_delay_alu instid0(VALU_DEP_2) | instskip(SKIP_1) | instid1(VALU_DEP_3)
	v_add_f64_e32 v[46:47], v[2:3], v[46:47]
	v_fma_f64 v[2:3], v[170:171], s[18:19], v[198:199]
	v_add_f64_e32 v[44:45], v[48:49], v[44:45]
	v_fma_f64 v[48:49], v[166:167], s[8:9], v[190:191]
	s_delay_alu instid0(VALU_DEP_3) | instskip(NEXT) | instid1(VALU_DEP_1)
	v_add_f64_e32 v[2:3], v[56:57], v[2:3]
	v_add_f64_e32 v[2:3], v[48:49], v[2:3]
	v_fma_f64 v[48:49], v[182:183], s[18:19], -v[202:203]
	s_delay_alu instid0(VALU_DEP_1) | instskip(NEXT) | instid1(VALU_DEP_1)
	v_add_f64_e32 v[48:49], v[58:59], v[48:49]
	v_add_f64_e32 v[48:49], v[50:51], v[48:49]
	v_fma_f64 v[50:51], v[172:173], s[14:15], v[184:185]
	s_delay_alu instid0(VALU_DEP_1) | instskip(SKIP_1) | instid1(VALU_DEP_1)
	v_add_f64_e32 v[2:3], v[50:51], v[2:3]
	v_fma_f64 v[50:51], v[176:177], s[14:15], -v[186:187]
	v_add_f64_e32 v[48:49], v[50:51], v[48:49]
	v_fma_f64 v[50:51], v[158:159], s[16:17], v[174:175]
	s_delay_alu instid0(VALU_DEP_1) | instskip(SKIP_1) | instid1(VALU_DEP_1)
	v_add_f64_e32 v[2:3], v[50:51], v[2:3]
	v_fma_f64 v[50:51], v[162:163], s[16:17], -v[178:179]
	v_add_f64_e32 v[50:51], v[50:51], v[48:49]
	v_fma_f64 v[48:49], v[150:151], s[0:1], v[160:161]
	s_delay_alu instid0(VALU_DEP_1) | instskip(SKIP_1) | instid1(VALU_DEP_1)
	v_add_f64_e32 v[48:49], v[48:49], v[2:3]
	v_fma_f64 v[2:3], v[152:153], s[0:1], -v[164:165]
	v_add_f64_e32 v[50:51], v[2:3], v[50:51]
	v_fma_f64 v[2:3], v[170:171], s[16:17], v[215:216]
	s_delay_alu instid0(VALU_DEP_1) | instskip(NEXT) | instid1(VALU_DEP_1)
	v_add_f64_e32 v[2:3], v[56:57], v[2:3]
	v_add_f64_e32 v[2:3], v[52:53], v[2:3]
	v_fma_f64 v[52:53], v[182:183], s[16:17], -v[217:218]
	s_delay_alu instid0(VALU_DEP_1) | instskip(NEXT) | instid1(VALU_DEP_1)
	v_add_f64_e32 v[52:53], v[58:59], v[52:53]
	v_add_f64_e32 v[52:53], v[54:55], v[52:53]
	v_fma_f64 v[54:55], v[172:173], s[18:19], v[207:208]
	s_delay_alu instid0(VALU_DEP_1) | instskip(SKIP_1) | instid1(VALU_DEP_1)
	v_add_f64_e32 v[2:3], v[54:55], v[2:3]
	v_fma_f64 v[54:55], v[176:177], s[18:19], -v[209:210]
	v_add_f64_e32 v[52:53], v[54:55], v[52:53]
	v_fma_f64 v[54:55], v[158:159], s[0:1], v[196:197]
	s_delay_alu instid0(VALU_DEP_1) | instskip(SKIP_1) | instid1(VALU_DEP_1)
	v_add_f64_e32 v[2:3], v[54:55], v[2:3]
	v_fma_f64 v[54:55], v[162:163], s[0:1], -v[200:201]
	;; [unrolled: 5-line block ×3, first 2 shown]
	v_add_f64_e32 v[54:55], v[2:3], v[54:55]
	v_mul_f64_e32 v[2:3], s[22:23], v[80:81]
	s_delay_alu instid0(VALU_DEP_1) | instskip(SKIP_1) | instid1(VALU_DEP_2)
	v_fma_f64 v[68:69], v[170:171], s[8:9], -v[2:3]
	v_fma_f64 v[2:3], v[170:171], s[8:9], v[2:3]
	v_add_f64_e32 v[68:69], v[56:57], v[68:69]
	s_delay_alu instid0(VALU_DEP_2) | instskip(NEXT) | instid1(VALU_DEP_2)
	v_add_f64_e32 v[2:3], v[56:57], v[2:3]
	v_add_f64_e32 v[68:69], v[70:71], v[68:69]
	v_fma_f64 v[70:71], v[182:183], s[8:9], v[74:75]
	s_delay_alu instid0(VALU_DEP_2) | instskip(NEXT) | instid1(VALU_DEP_2)
	v_add_f64_e32 v[10:11], v[10:11], v[68:69]
	v_add_f64_e32 v[70:71], v[58:59], v[70:71]
	s_delay_alu instid0(VALU_DEP_1) | instskip(NEXT) | instid1(VALU_DEP_1)
	v_add_f64_e32 v[6:7], v[6:7], v[70:71]
	v_add_f64_e32 v[6:7], v[14:15], v[6:7]
	v_mul_f64_e32 v[14:15], s[24:25], v[253:254]
	s_delay_alu instid0(VALU_DEP_2) | instskip(NEXT) | instid1(VALU_DEP_2)
	v_add_f64_e32 v[6:7], v[18:19], v[6:7]
	v_fma_f64 v[68:69], v[158:159], s[14:15], -v[14:15]
	v_mul_f64_e32 v[18:19], s[38:39], v[220:221]
	s_delay_alu instid0(VALU_DEP_2) | instskip(NEXT) | instid1(VALU_DEP_2)
	v_add_f64_e32 v[10:11], v[68:69], v[10:11]
	v_fma_f64 v[68:69], v[150:151], s[18:19], -v[18:19]
	s_delay_alu instid0(VALU_DEP_1) | instskip(SKIP_2) | instid1(VALU_DEP_2)
	v_add_f64_e32 v[68:69], v[68:69], v[10:11]
	v_mul_f64_e32 v[10:11], s[38:39], v[0:1]
	v_mul_f64_e32 v[0:1], s[20:21], v[0:1]
	v_fma_f64 v[70:71], v[152:153], s[18:19], v[10:11]
	s_delay_alu instid0(VALU_DEP_1) | instskip(SKIP_1) | instid1(VALU_DEP_1)
	v_add_f64_e32 v[70:71], v[70:71], v[6:7]
	v_fma_f64 v[6:7], v[166:167], s[16:17], v[72:73]
	v_add_f64_e32 v[2:3], v[6:7], v[2:3]
	v_fma_f64 v[6:7], v[182:183], s[8:9], -v[74:75]
	s_delay_alu instid0(VALU_DEP_1) | instskip(NEXT) | instid1(VALU_DEP_1)
	v_add_f64_e32 v[6:7], v[58:59], v[6:7]
	v_add_f64_e32 v[4:5], v[4:5], v[6:7]
	v_fma_f64 v[6:7], v[172:173], s[0:1], v[8:9]
	v_fma_f64 v[8:9], v[152:153], s[18:19], -v[10:11]
	v_mul_f64_e32 v[10:11], s[30:31], v[86:87]
	s_delay_alu instid0(VALU_DEP_3) | instskip(SKIP_1) | instid1(VALU_DEP_1)
	v_add_f64_e32 v[2:3], v[6:7], v[2:3]
	v_fma_f64 v[6:7], v[176:177], s[0:1], -v[12:13]
	v_add_f64_e32 v[4:5], v[6:7], v[4:5]
	v_fma_f64 v[6:7], v[158:159], s[14:15], v[14:15]
	v_fma_f64 v[14:15], v[180:181], s[0:1], v[10:11]
	s_delay_alu instid0(VALU_DEP_2) | instskip(SKIP_1) | instid1(VALU_DEP_1)
	v_add_f64_e32 v[2:3], v[6:7], v[2:3]
	v_fma_f64 v[6:7], v[162:163], s[14:15], -v[16:17]
	v_add_f64_e32 v[4:5], v[6:7], v[4:5]
	v_fma_f64 v[6:7], v[150:151], s[18:19], v[18:19]
	s_delay_alu instid0(VALU_DEP_2) | instskip(NEXT) | instid1(VALU_DEP_2)
	v_add_f64_e32 v[74:75], v[8:9], v[4:5]
	v_add_f64_e32 v[72:73], v[6:7], v[2:3]
	v_mul_f64_e32 v[2:3], s[24:25], v[80:81]
	v_mul_f64_e32 v[4:5], s[30:31], v[82:83]
	s_delay_alu instid0(VALU_DEP_2) | instskip(NEXT) | instid1(VALU_DEP_2)
	v_fma_f64 v[6:7], v[170:171], s[14:15], -v[2:3]
	v_fma_f64 v[8:9], v[166:167], s[0:1], -v[4:5]
	v_fma_f64 v[2:3], v[170:171], s[14:15], v[2:3]
	v_fma_f64 v[4:5], v[166:167], s[0:1], v[4:5]
	s_delay_alu instid0(VALU_DEP_4) | instskip(NEXT) | instid1(VALU_DEP_3)
	v_add_f64_e32 v[6:7], v[56:57], v[6:7]
	v_add_f64_e32 v[2:3], v[56:57], v[2:3]
	s_delay_alu instid0(VALU_DEP_2) | instskip(SKIP_1) | instid1(VALU_DEP_3)
	v_add_f64_e32 v[6:7], v[8:9], v[6:7]
	v_mul_f64_e32 v[8:9], s[24:25], v[84:85]
	v_add_f64_e32 v[2:3], v[4:5], v[2:3]
	s_delay_alu instid0(VALU_DEP_2) | instskip(SKIP_1) | instid1(VALU_DEP_2)
	v_fma_f64 v[12:13], v[182:183], s[14:15], v[8:9]
	v_fma_f64 v[4:5], v[182:183], s[14:15], -v[8:9]
	v_add_f64_e32 v[12:13], v[58:59], v[12:13]
	s_delay_alu instid0(VALU_DEP_2) | instskip(NEXT) | instid1(VALU_DEP_2)
	v_add_f64_e32 v[4:5], v[58:59], v[4:5]
	v_add_f64_e32 v[12:13], v[14:15], v[12:13]
	v_mul_f64_e32 v[14:15], s[22:23], v[225:226]
	s_delay_alu instid0(VALU_DEP_1) | instskip(NEXT) | instid1(VALU_DEP_1)
	v_fma_f64 v[16:17], v[172:173], s[8:9], -v[14:15]
	v_add_f64_e32 v[6:7], v[16:17], v[6:7]
	v_mul_f64_e32 v[16:17], s[22:23], v[251:252]
	s_delay_alu instid0(VALU_DEP_1) | instskip(NEXT) | instid1(VALU_DEP_1)
	v_fma_f64 v[18:19], v[176:177], s[8:9], v[16:17]
	v_add_f64_e32 v[12:13], v[18:19], v[12:13]
	v_mul_f64_e32 v[18:19], s[38:39], v[253:254]
	s_delay_alu instid0(VALU_DEP_1) | instskip(NEXT) | instid1(VALU_DEP_1)
	v_fma_f64 v[80:81], v[158:159], s[18:19], -v[18:19]
	v_add_f64_e32 v[6:7], v[80:81], v[6:7]
	v_mul_f64_e32 v[80:81], s[38:39], v[222:223]
	s_delay_alu instid0(VALU_DEP_1) | instskip(NEXT) | instid1(VALU_DEP_1)
	v_fma_f64 v[82:83], v[162:163], s[18:19], v[80:81]
	v_add_f64_e32 v[12:13], v[82:83], v[12:13]
	v_mul_f64_e32 v[82:83], s[20:21], v[220:221]
	s_delay_alu instid0(VALU_DEP_1) | instskip(NEXT) | instid1(VALU_DEP_1)
	v_fma_f64 v[84:85], v[150:151], s[16:17], -v[82:83]
	v_add_f64_e32 v[84:85], v[84:85], v[6:7]
	v_fma_f64 v[6:7], v[152:153], s[16:17], v[0:1]
	v_fma_f64 v[0:1], v[152:153], s[16:17], -v[0:1]
	s_delay_alu instid0(VALU_DEP_2) | instskip(SKIP_1) | instid1(VALU_DEP_1)
	v_add_f64_e32 v[86:87], v[6:7], v[12:13]
	v_fma_f64 v[6:7], v[180:181], s[0:1], -v[10:11]
	v_add_f64_e32 v[4:5], v[6:7], v[4:5]
	v_fma_f64 v[6:7], v[172:173], s[8:9], v[14:15]
	s_delay_alu instid0(VALU_DEP_1) | instskip(SKIP_1) | instid1(VALU_DEP_1)
	v_add_f64_e32 v[2:3], v[6:7], v[2:3]
	v_fma_f64 v[6:7], v[176:177], s[8:9], -v[16:17]
	v_add_f64_e32 v[4:5], v[6:7], v[4:5]
	v_fma_f64 v[6:7], v[158:159], s[18:19], v[18:19]
	s_delay_alu instid0(VALU_DEP_1) | instskip(SKIP_1) | instid1(VALU_DEP_1)
	v_add_f64_e32 v[2:3], v[6:7], v[2:3]
	v_fma_f64 v[6:7], v[162:163], s[18:19], -v[80:81]
	v_add_f64_e32 v[4:5], v[6:7], v[4:5]
	v_fma_f64 v[6:7], v[150:151], s[16:17], v[82:83]
	s_delay_alu instid0(VALU_DEP_2) | instskip(NEXT) | instid1(VALU_DEP_2)
	v_add_f64_e32 v[82:83], v[0:1], v[4:5]
	v_add_f64_e32 v[80:81], v[6:7], v[2:3]
	v_mul_lo_u16 v0, v255, 11
	s_delay_alu instid0(VALU_DEP_1) | instskip(NEXT) | instid1(VALU_DEP_1)
	v_and_b32_e32 v0, 0xffff, v0
	v_lshl_add_u32 v226, v0, 4, v22
	ds_store_b128 v226, v[116:119]
	ds_store_b128 v226, v[124:127] offset:16
	ds_store_b128 v226, v[128:131] offset:32
	;; [unrolled: 1-line block ×10, first 2 shown]
	v_add_co_u32 v116, null, v255, 11
	s_delay_alu instid0(VALU_DEP_1)
	v_mul_u32_u24_e32 v0, 11, v116
	scratch_store_b32 off, v0, off offset:172 ; 4-byte Folded Spill
	s_and_saveexec_b32 s20, vcc_lo
	s_cbranch_execz .LBB0_7
; %bb.6:
	v_add_f64_e32 v[0:1], v[58:59], v[62:63]
	v_add_f64_e32 v[2:3], v[56:57], v[60:61]
	v_mul_f64_e32 v[8:9], s[18:19], v[182:183]
	v_mul_f64_e32 v[10:11], s[18:19], v[170:171]
	;; [unrolled: 1-line block ×12, first 2 shown]
	v_add_f64_e32 v[0:1], v[0:1], v[94:95]
	v_add_f64_e32 v[2:3], v[2:3], v[92:93]
	;; [unrolled: 1-line block ×3, first 2 shown]
	v_add_f64_e64 v[10:11], v[10:11], -v[198:199]
	v_add_f64_e32 v[4:5], v[217:218], v[4:5]
	v_add_f64_e64 v[6:7], v[6:7], -v[215:216]
	v_mul_f64_e32 v[92:93], s[18:19], v[180:181]
	v_mul_f64_e32 v[94:95], s[18:19], v[166:167]
	v_add_f64_e32 v[12:13], v[168:169], v[12:13]
	v_add_f64_e64 v[14:15], v[14:15], -v[154:155]
	v_add_f64_e32 v[60:61], v[194:195], v[60:61]
	v_add_f64_e64 v[62:63], v[62:63], -v[190:191]
	;; [unrolled: 2-line block ×3, first 2 shown]
	v_add_f64_e32 v[0:1], v[0:1], v[106:107]
	v_add_f64_e32 v[2:3], v[2:3], v[104:105]
	;; [unrolled: 1-line block ×6, first 2 shown]
	v_mul_f64_e32 v[104:105], s[16:17], v[172:173]
	v_mul_f64_e32 v[106:107], s[16:17], v[176:177]
	v_add_f64_e32 v[92:93], v[156:157], v[92:93]
	v_add_f64_e64 v[94:95], v[94:95], -v[146:147]
	v_add_f64_e32 v[12:13], v[58:59], v[12:13]
	v_add_f64_e32 v[14:15], v[56:57], v[14:15]
	v_mul_f64_e32 v[56:57], s[8:9], v[158:159]
	v_mul_f64_e32 v[58:59], s[8:9], v[162:163]
	v_add_f64_e32 v[0:1], v[0:1], v[114:115]
	v_add_f64_e32 v[2:3], v[2:3], v[112:113]
	v_mul_f64_e32 v[112:113], s[18:19], v[172:173]
	v_mul_f64_e32 v[114:115], s[18:19], v[176:177]
	v_add_f64_e32 v[8:9], v[60:61], v[8:9]
	v_add_f64_e32 v[10:11], v[62:63], v[10:11]
	;; [unrolled: 1-line block ×5, first 2 shown]
	v_add_f64_e64 v[104:105], v[104:105], -v[144:145]
	v_add_f64_e32 v[12:13], v[92:93], v[12:13]
	v_add_f64_e32 v[14:15], v[94:95], v[14:15]
	v_mul_f64_e32 v[60:61], s[0:1], v[150:151]
	v_mul_f64_e32 v[62:63], s[0:1], v[152:153]
	;; [unrolled: 1-line block ×6, first 2 shown]
	v_add_f64_e32 v[58:59], v[142:143], v[58:59]
	v_add_f64_e64 v[56:57], v[56:57], -v[138:139]
	v_add_f64_e32 v[0:1], v[0:1], v[110:111]
	v_add_f64_e32 v[2:3], v[2:3], v[108:109]
	v_mul_f64_e32 v[108:109], s[14:15], v[172:173]
	v_mul_f64_e32 v[110:111], s[14:15], v[176:177]
	v_add_f64_e32 v[114:115], v[209:210], v[114:115]
	v_add_f64_e64 v[112:113], v[112:113], -v[207:208]
	v_add_f64_e32 v[12:13], v[106:107], v[12:13]
	v_add_f64_e32 v[14:15], v[104:105], v[14:15]
	v_add_f64_e64 v[60:61], v[60:61], -v[160:161]
	v_add_f64_e32 v[62:63], v[164:165], v[62:63]
	v_add_f64_e64 v[16:17], v[16:17], -v[136:137]
	v_add_f64_e32 v[18:19], v[140:141], v[18:19]
	v_add_f64_e32 v[0:1], v[0:1], v[102:103]
	;; [unrolled: 1-line block ×3, first 2 shown]
	v_mul_f64_e32 v[100:101], s[16:17], v[158:159]
	v_mul_f64_e32 v[102:103], s[16:17], v[162:163]
	v_add_f64_e32 v[110:111], v[186:187], v[110:111]
	v_add_f64_e64 v[108:109], v[108:109], -v[184:185]
	v_add_f64_e32 v[4:5], v[114:115], v[4:5]
	v_add_f64_e32 v[6:7], v[112:113], v[6:7]
	;; [unrolled: 1-line block ×6, first 2 shown]
	v_add_f64_e64 v[100:101], v[100:101], -v[174:175]
	v_add_f64_e32 v[102:103], v[178:179], v[102:103]
	v_add_f64_e32 v[8:9], v[110:111], v[8:9]
	;; [unrolled: 1-line block ×4, first 2 shown]
	v_add_f64_e64 v[98:99], v[117:118], -v[196:197]
	v_add_f64_e32 v[0:1], v[0:1], v[78:79]
	v_add_f64_e32 v[2:3], v[2:3], v[76:77]
	;; [unrolled: 1-line block ×3, first 2 shown]
	v_add_f64_e64 v[78:79], v[92:93], -v[188:189]
	v_add_f64_e32 v[8:9], v[102:103], v[8:9]
	v_add_f64_e32 v[10:11], v[100:101], v[10:11]
	v_add_f64_e32 v[4:5], v[96:97], v[4:5]
	v_add_f64_e32 v[6:7], v[98:99], v[6:7]
	v_add_f64_e32 v[0:1], v[0:1], v[66:67]
	v_add_f64_e32 v[2:3], v[2:3], v[64:65]
	v_add_f64_e32 v[66:67], v[18:19], v[12:13]
	v_add_f64_e32 v[64:65], v[16:17], v[14:15]
	v_add_f64_e32 v[62:63], v[62:63], v[8:9]
	v_add_f64_e32 v[60:61], v[60:61], v[10:11]
	v_add_f64_e32 v[58:59], v[76:77], v[4:5]
	v_add_f64_e32 v[56:57], v[78:79], v[6:7]
	v_add_f64_e32 v[78:79], v[0:1], v[90:91]
	v_add_f64_e32 v[76:77], v[2:3], v[88:89]
	v_mul_u32_u24_e32 v0, 11, v116
	s_delay_alu instid0(VALU_DEP_1)
	v_lshl_add_u32 v0, v0, 4, v22
	ds_store_b128 v0, v[68:71] offset:64
	ds_store_b128 v0, v[84:87] offset:80
	;; [unrolled: 1-line block ×8, first 2 shown]
	ds_store_b128 v0, v[76:79]
	ds_store_b128 v0, v[64:67] offset:16
	ds_store_b128 v0, v[44:47] offset:160
.LBB0_7:
	s_wait_alu 0xfffe
	s_or_b32 exec_lo, exec_lo, s20
	v_lshlrev_b32_e32 v92, 6, v255
	global_wb scope:SCOPE_SE
	s_wait_storecnt_dscnt 0x0
	s_barrier_signal -1
	s_barrier_wait -1
	global_inv scope:SCOPE_SE
	s_clause 0x3
	global_load_b128 v[64:67], v92, s[2:3]
	global_load_b128 v[60:63], v92, s[2:3] offset:16
	global_load_b128 v[56:59], v92, s[2:3] offset:32
	;; [unrolled: 1-line block ×3, first 2 shown]
	ds_load_b128 v[88:91], v219 offset:528
	ds_load_b128 v[112:115], v219 offset:352
	;; [unrolled: 1-line block ×4, first 2 shown]
	v_add_co_u32 v120, null, v255, 22
	s_mov_b32 s14, 0x134454ff
	s_mov_b32 s15, 0x3fee6f0e
	;; [unrolled: 1-line block ×3, first 2 shown]
	s_delay_alu instid0(VALU_DEP_1)
	v_and_b32_e32 v20, 0xff, v120
	s_wait_alu 0xfffe
	s_mov_b32 s16, s14
	s_mov_b32 s0, 0x4755a5e
	;; [unrolled: 1-line block ×4, first 2 shown]
	v_mul_lo_u16 v20, 0x75, v20
	s_wait_alu 0xfffe
	s_mov_b32 s8, s0
	s_mov_b32 s18, 0x372fe950
	;; [unrolled: 1-line block ×3, first 2 shown]
	v_lshl_add_u32 v207, v255, 4, v22
	v_lshrrev_b16 v20, 8, v20
	s_delay_alu instid0(VALU_DEP_1) | instskip(NEXT) | instid1(VALU_DEP_1)
	v_sub_nc_u16 v21, v120, v20
	v_lshrrev_b16 v21, 1, v21
	s_delay_alu instid0(VALU_DEP_1) | instskip(NEXT) | instid1(VALU_DEP_1)
	v_and_b32_e32 v21, 0x7f, v21
	v_add_nc_u16 v20, v21, v20
	s_delay_alu instid0(VALU_DEP_1) | instskip(NEXT) | instid1(VALU_DEP_1)
	v_lshrrev_b16 v20, 3, v20
	v_mul_lo_u16 v20, v20, 11
	s_delay_alu instid0(VALU_DEP_1) | instskip(NEXT) | instid1(VALU_DEP_1)
	v_sub_nc_u16 v20, v120, v20
	v_lshlrev_b16 v21, 2, v20
	s_delay_alu instid0(VALU_DEP_1) | instskip(NEXT) | instid1(VALU_DEP_1)
	v_and_b32_e32 v21, 0xfc, v21
	v_lshlrev_b32_e32 v21, 4, v21
	s_wait_loadcnt_dscnt 0x303
	v_mul_f64_e32 v[0:1], v[90:91], v[66:67]
	v_mul_f64_e32 v[2:3], v[88:89], v[66:67]
	s_wait_loadcnt_dscnt 0x201
	v_mul_f64_e32 v[4:5], v[95:96], v[62:63]
	v_mul_f64_e32 v[6:7], v[93:94], v[62:63]
	s_delay_alu instid0(VALU_DEP_4) | instskip(NEXT) | instid1(VALU_DEP_4)
	v_fma_f64 v[0:1], v[88:89], v[64:65], -v[0:1]
	v_fma_f64 v[2:3], v[90:91], v[64:65], v[2:3]
	ds_load_b128 v[88:91], v219 offset:1584
	ds_load_b128 v[104:107], v219 offset:1408
	v_fma_f64 v[4:5], v[93:94], v[60:61], -v[4:5]
	v_fma_f64 v[6:7], v[95:96], v[60:61], v[6:7]
	s_wait_loadcnt_dscnt 0x101
	v_mul_f64_e32 v[8:9], v[90:91], v[58:59]
	v_mul_f64_e32 v[10:11], v[88:89], v[58:59]
	s_delay_alu instid0(VALU_DEP_2) | instskip(NEXT) | instid1(VALU_DEP_2)
	v_fma_f64 v[8:9], v[88:89], v[56:57], -v[8:9]
	v_fma_f64 v[10:11], v[90:91], v[56:57], v[10:11]
	ds_load_b128 v[88:91], v219 offset:2112
	ds_load_b128 v[93:96], v219 offset:2288
	s_wait_loadcnt_dscnt 0x1
	v_mul_f64_e32 v[12:13], v[90:91], v[78:79]
	v_mul_f64_e32 v[14:15], v[88:89], v[78:79]
	v_add_f64_e32 v[125:126], v[4:5], v[8:9]
	v_add_f64_e64 v[139:140], v[6:7], -v[10:11]
	v_add_f64_e64 v[143:144], v[4:5], -v[8:9]
	v_fma_f64 v[12:13], v[88:89], v[76:77], -v[12:13]
	v_fma_f64 v[14:15], v[90:91], v[76:77], v[14:15]
	ds_load_b128 v[88:91], v219 offset:704
	ds_load_b128 v[108:111], v219 offset:880
	s_wait_dscnt 0x1
	v_mul_f64_e32 v[16:17], v[90:91], v[66:67]
	v_mul_f64_e32 v[18:19], v[88:89], v[66:67]
	v_add_f64_e64 v[141:142], v[0:1], -v[12:13]
	v_add_f64_e64 v[137:138], v[2:3], -v[14:15]
	s_delay_alu instid0(VALU_DEP_4) | instskip(SKIP_2) | instid1(VALU_DEP_2)
	v_fma_f64 v[16:17], v[88:89], v[64:65], -v[16:17]
	v_mul_f64_e32 v[88:89], v[99:100], v[62:63]
	v_fma_f64 v[18:19], v[90:91], v[64:65], v[18:19]
	v_fma_f64 v[117:118], v[97:98], v[60:61], -v[88:89]
	v_mul_f64_e32 v[88:89], v[97:98], v[62:63]
	s_delay_alu instid0(VALU_DEP_1) | instskip(SKIP_4) | instid1(VALU_DEP_1)
	v_fma_f64 v[149:150], v[99:100], v[60:61], v[88:89]
	ds_load_b128 v[88:91], v219 offset:1760
	ds_load_b128 v[121:124], v219 offset:1936
	s_wait_dscnt 0x1
	v_mul_f64_e32 v[97:98], v[90:91], v[58:59]
	v_fma_f64 v[151:152], v[88:89], v[56:57], -v[97:98]
	v_mul_f64_e32 v[88:89], v[88:89], v[58:59]
	s_delay_alu instid0(VALU_DEP_2) | instskip(NEXT) | instid1(VALU_DEP_2)
	v_add_f64_e64 v[157:158], v[117:118], -v[151:152]
	v_fma_f64 v[153:154], v[90:91], v[56:57], v[88:89]
	v_mul_f64_e32 v[88:89], v[95:96], v[78:79]
	s_delay_alu instid0(VALU_DEP_1) | instskip(SKIP_1) | instid1(VALU_DEP_1)
	v_fma_f64 v[155:156], v[93:94], v[76:77], -v[88:89]
	v_mul_f64_e32 v[88:89], v[93:94], v[78:79]
	v_fma_f64 v[93:94], v[95:96], v[76:77], v[88:89]
	s_clause 0x1
	global_load_b128 v[100:103], v21, s[2:3]
	global_load_b128 v[96:99], v21, s[2:3] offset:16
	s_wait_loadcnt 0x1
	v_mul_f64_e32 v[88:89], v[110:111], v[102:103]
	s_delay_alu instid0(VALU_DEP_1) | instskip(SKIP_1) | instid1(VALU_DEP_1)
	v_fma_f64 v[165:166], v[108:109], v[100:101], -v[88:89]
	v_mul_f64_e32 v[88:89], v[108:109], v[102:103]
	v_fma_f64 v[167:168], v[110:111], v[100:101], v[88:89]
	s_wait_loadcnt 0x0
	v_mul_f64_e32 v[88:89], v[106:107], v[98:99]
	s_delay_alu instid0(VALU_DEP_1) | instskip(SKIP_1) | instid1(VALU_DEP_1)
	v_fma_f64 v[169:170], v[104:105], v[96:97], -v[88:89]
	v_mul_f64_e32 v[88:89], v[104:105], v[98:99]
	v_fma_f64 v[171:172], v[106:107], v[96:97], v[88:89]
	s_clause 0x1
	global_load_b128 v[108:111], v21, s[2:3] offset:32
	global_load_b128 v[104:107], v21, s[2:3] offset:48
	s_wait_loadcnt_dscnt 0x100
	v_mul_f64_e32 v[88:89], v[123:124], v[110:111]
	s_delay_alu instid0(VALU_DEP_1) | instskip(SKIP_1) | instid1(VALU_DEP_1)
	v_fma_f64 v[173:174], v[121:122], v[108:109], -v[88:89]
	v_mul_f64_e32 v[88:89], v[121:122], v[110:111]
	v_fma_f64 v[175:176], v[123:124], v[108:109], v[88:89]
	ds_load_b128 v[88:91], v219 offset:2464
	s_wait_loadcnt_dscnt 0x0
	v_mul_f64_e32 v[121:122], v[90:91], v[106:107]
	s_delay_alu instid0(VALU_DEP_1) | instskip(SKIP_1) | instid1(VALU_DEP_1)
	v_fma_f64 v[177:178], v[88:89], v[104:105], -v[121:122]
	v_mul_f64_e32 v[88:89], v[88:89], v[106:107]
	v_fma_f64 v[179:180], v[90:91], v[104:105], v[88:89]
	v_add_f64_e64 v[88:89], v[0:1], -v[4:5]
	v_add_f64_e64 v[90:91], v[12:13], -v[8:9]
	s_delay_alu instid0(VALU_DEP_1) | instskip(SKIP_2) | instid1(VALU_DEP_1)
	v_add_f64_e32 v[129:130], v[88:89], v[90:91]
	v_add_f64_e64 v[88:89], v[2:3], -v[6:7]
	v_add_f64_e64 v[90:91], v[14:15], -v[10:11]
	v_add_f64_e32 v[131:132], v[88:89], v[90:91]
	ds_load_b128 v[88:91], v219
	ds_load_b128 v[121:124], v219 offset:176
	global_wb scope:SCOPE_SE
	s_wait_dscnt 0x0
	s_barrier_signal -1
	s_barrier_wait -1
	global_inv scope:SCOPE_SE
	v_fma_f64 v[133:134], v[125:126], -0.5, v[88:89]
	v_add_f64_e32 v[125:126], v[6:7], v[10:11]
	s_delay_alu instid0(VALU_DEP_1) | instskip(NEXT) | instid1(VALU_DEP_3)
	v_fma_f64 v[135:136], v[125:126], -0.5, v[90:91]
	v_fma_f64 v[125:126], v[137:138], s[14:15], v[133:134]
	v_fma_f64 v[133:134], v[137:138], s[16:17], v[133:134]
	s_delay_alu instid0(VALU_DEP_3) | instskip(SKIP_1) | instid1(VALU_DEP_4)
	v_fma_f64 v[127:128], v[141:142], s[16:17], v[135:136]
	v_fma_f64 v[135:136], v[141:142], s[14:15], v[135:136]
	;; [unrolled: 1-line block ×3, first 2 shown]
	s_wait_alu 0xfffe
	s_delay_alu instid0(VALU_DEP_4) | instskip(NEXT) | instid1(VALU_DEP_4)
	v_fma_f64 v[133:134], v[139:140], s[8:9], v[133:134]
	v_fma_f64 v[127:128], v[143:144], s[8:9], v[127:128]
	s_delay_alu instid0(VALU_DEP_4) | instskip(NEXT) | instid1(VALU_DEP_4)
	v_fma_f64 v[135:136], v[143:144], s[0:1], v[135:136]
	v_fma_f64 v[125:126], v[129:130], s[18:19], v[125:126]
	s_delay_alu instid0(VALU_DEP_4) | instskip(SKIP_4) | instid1(VALU_DEP_4)
	v_fma_f64 v[129:130], v[129:130], s[18:19], v[133:134]
	v_add_f64_e32 v[133:134], v[0:1], v[12:13]
	v_fma_f64 v[127:128], v[131:132], s[18:19], v[127:128]
	v_fma_f64 v[131:132], v[131:132], s[18:19], v[135:136]
	v_add_f64_e32 v[135:136], v[2:3], v[14:15]
	v_fma_f64 v[133:134], v[133:134], -0.5, v[88:89]
	v_add_f64_e32 v[88:89], v[88:89], v[0:1]
	v_add_f64_e64 v[0:1], v[4:5], -v[0:1]
	s_delay_alu instid0(VALU_DEP_4) | instskip(SKIP_3) | instid1(VALU_DEP_3)
	v_fma_f64 v[135:136], v[135:136], -0.5, v[90:91]
	v_add_f64_e32 v[90:91], v[90:91], v[2:3]
	v_add_f64_e64 v[2:3], v[6:7], -v[2:3]
	v_add_f64_e32 v[4:5], v[88:89], v[4:5]
	v_add_f64_e32 v[88:89], v[90:91], v[6:7]
	s_delay_alu instid0(VALU_DEP_2) | instskip(SKIP_1) | instid1(VALU_DEP_3)
	v_add_f64_e32 v[4:5], v[4:5], v[8:9]
	v_add_f64_e64 v[8:9], v[8:9], -v[12:13]
	v_add_f64_e32 v[6:7], v[88:89], v[10:11]
	s_delay_alu instid0(VALU_DEP_3)
	v_add_f64_e32 v[88:89], v[4:5], v[12:13]
	v_add_f64_e64 v[4:5], v[10:11], -v[14:15]
	v_fma_f64 v[10:11], v[139:140], s[14:15], v[133:134]
	v_fma_f64 v[12:13], v[143:144], s[14:15], v[135:136]
	v_add_f64_e32 v[0:1], v[0:1], v[8:9]
	v_add_f64_e32 v[90:91], v[6:7], v[14:15]
	v_fma_f64 v[6:7], v[139:140], s[16:17], v[133:134]
	v_fma_f64 v[14:15], v[143:144], s[16:17], v[135:136]
	v_add_f64_e32 v[2:3], v[2:3], v[4:5]
	v_fma_f64 v[8:9], v[141:142], s[8:9], v[12:13]
	s_delay_alu instid0(VALU_DEP_4)
	v_fma_f64 v[4:5], v[137:138], s[0:1], v[6:7]
	v_fma_f64 v[6:7], v[137:138], s[8:9], v[10:11]
	;; [unrolled: 1-line block ×3, first 2 shown]
	v_add_f64_e64 v[14:15], v[16:17], -v[155:156]
	v_fma_f64 v[135:136], v[2:3], s[18:19], v[8:9]
	v_add_f64_e64 v[8:9], v[18:19], -v[93:94]
	v_fma_f64 v[133:134], v[0:1], s[18:19], v[4:5]
	v_fma_f64 v[137:138], v[0:1], s[18:19], v[6:7]
	;; [unrolled: 1-line block ×3, first 2 shown]
	v_add_f64_e64 v[0:1], v[16:17], -v[117:118]
	v_add_f64_e64 v[2:3], v[155:156], -v[151:152]
	;; [unrolled: 1-line block ×3, first 2 shown]
	v_add_f64_e32 v[6:7], v[149:150], v[153:154]
	v_add_f64_e64 v[10:11], v[149:150], -v[153:154]
	s_delay_alu instid0(VALU_DEP_4) | instskip(SKIP_1) | instid1(VALU_DEP_4)
	v_add_f64_e32 v[0:1], v[0:1], v[2:3]
	v_add_f64_e64 v[2:3], v[18:19], -v[149:150]
	v_fma_f64 v[6:7], v[6:7], -0.5, v[123:124]
	s_delay_alu instid0(VALU_DEP_2) | instskip(SKIP_1) | instid1(VALU_DEP_3)
	v_add_f64_e32 v[2:3], v[2:3], v[4:5]
	v_add_f64_e32 v[4:5], v[117:118], v[151:152]
	v_fma_f64 v[141:142], v[14:15], s[16:17], v[6:7]
	v_fma_f64 v[6:7], v[14:15], s[14:15], v[6:7]
	s_delay_alu instid0(VALU_DEP_3) | instskip(NEXT) | instid1(VALU_DEP_3)
	v_fma_f64 v[4:5], v[4:5], -0.5, v[121:122]
	v_fma_f64 v[143:144], v[157:158], s[8:9], v[141:142]
	s_delay_alu instid0(VALU_DEP_3) | instskip(NEXT) | instid1(VALU_DEP_3)
	v_fma_f64 v[6:7], v[157:158], s[0:1], v[6:7]
	v_fma_f64 v[12:13], v[8:9], s[14:15], v[4:5]
	;; [unrolled: 1-line block ×3, first 2 shown]
	s_delay_alu instid0(VALU_DEP_3)
	v_fma_f64 v[147:148], v[2:3], s[18:19], v[6:7]
	v_add_f64_e32 v[6:7], v[123:124], v[18:19]
	v_fma_f64 v[143:144], v[2:3], s[18:19], v[143:144]
	v_add_f64_e32 v[2:3], v[18:19], v[93:94]
	v_fma_f64 v[12:13], v[10:11], s[0:1], v[12:13]
	v_fma_f64 v[4:5], v[10:11], s[8:9], v[4:5]
	v_add_f64_e32 v[6:7], v[6:7], v[149:150]
	s_delay_alu instid0(VALU_DEP_4) | instskip(NEXT) | instid1(VALU_DEP_4)
	v_fma_f64 v[2:3], v[2:3], -0.5, v[123:124]
	v_fma_f64 v[141:142], v[0:1], s[18:19], v[12:13]
	s_delay_alu instid0(VALU_DEP_4)
	v_fma_f64 v[145:146], v[0:1], s[18:19], v[4:5]
	v_add_f64_e32 v[4:5], v[121:122], v[16:17]
	v_add_f64_e32 v[0:1], v[16:17], v[155:156]
	;; [unrolled: 1-line block ×3, first 2 shown]
	v_add_f64_e64 v[12:13], v[117:118], -v[16:17]
	v_add_f64_e64 v[16:17], v[149:150], -v[18:19]
	;; [unrolled: 1-line block ×3, first 2 shown]
	v_add_f64_e32 v[4:5], v[4:5], v[117:118]
	v_fma_f64 v[0:1], v[0:1], -0.5, v[121:122]
	v_add_f64_e32 v[123:124], v[6:7], v[93:94]
	s_delay_alu instid0(VALU_DEP_4) | instskip(NEXT) | instid1(VALU_DEP_4)
	v_add_f64_e32 v[12:13], v[12:13], v[18:19]
	v_add_f64_e32 v[4:5], v[4:5], v[151:152]
	s_delay_alu instid0(VALU_DEP_4)
	v_fma_f64 v[6:7], v[10:11], s[16:17], v[0:1]
	v_fma_f64 v[0:1], v[10:11], s[14:15], v[0:1]
	;; [unrolled: 1-line block ×4, first 2 shown]
	v_add_f64_e32 v[121:122], v[4:5], v[155:156]
	v_add_f64_e64 v[4:5], v[153:154], -v[93:94]
	v_fma_f64 v[0:1], v[8:9], s[8:9], v[0:1]
	v_fma_f64 v[6:7], v[8:9], s[0:1], v[6:7]
	;; [unrolled: 1-line block ×4, first 2 shown]
	v_add_f64_e64 v[14:15], v[169:170], -v[173:174]
	v_add_f64_e64 v[10:11], v[167:168], -v[179:180]
	;; [unrolled: 1-line block ×3, first 2 shown]
	v_add_f64_e32 v[4:5], v[16:17], v[4:5]
	v_fma_f64 v[153:154], v[12:13], s[18:19], v[0:1]
	v_add_f64_e64 v[0:1], v[169:170], -v[165:166]
	v_fma_f64 v[149:150], v[12:13], s[18:19], v[6:7]
	v_add_f64_e32 v[6:7], v[167:168], v[179:180]
	v_add_f64_e64 v[16:17], v[165:166], -v[177:178]
	v_fma_f64 v[155:156], v[4:5], s[18:19], v[2:3]
	v_add_f64_e64 v[2:3], v[173:174], -v[177:178]
	v_fma_f64 v[151:152], v[4:5], s[18:19], v[8:9]
	v_add_f64_e64 v[4:5], v[175:176], -v[179:180]
	v_fma_f64 v[6:7], v[6:7], -0.5, v[114:115]
	v_add_f64_e64 v[8:9], v[171:172], -v[175:176]
	ds_store_b128 v219, v[88:91]
	ds_store_b128 v219, v[125:128] offset:176
	ds_store_b128 v219, v[133:136] offset:352
	;; [unrolled: 1-line block ×9, first 2 shown]
	v_add_f64_e32 v[0:1], v[0:1], v[2:3]
	v_add_f64_e64 v[2:3], v[171:172], -v[167:168]
	v_fma_f64 v[18:19], v[14:15], s[14:15], v[6:7]
	v_fma_f64 v[6:7], v[14:15], s[16:17], v[6:7]
	s_delay_alu instid0(VALU_DEP_3) | instskip(SKIP_1) | instid1(VALU_DEP_4)
	v_add_f64_e32 v[2:3], v[2:3], v[4:5]
	v_add_f64_e32 v[4:5], v[165:166], v[177:178]
	v_fma_f64 v[18:19], v[16:17], s[8:9], v[18:19]
	s_delay_alu instid0(VALU_DEP_4) | instskip(NEXT) | instid1(VALU_DEP_3)
	v_fma_f64 v[6:7], v[16:17], s[0:1], v[6:7]
	v_fma_f64 v[4:5], v[4:5], -0.5, v[112:113]
	s_delay_alu instid0(VALU_DEP_3) | instskip(NEXT) | instid1(VALU_DEP_3)
	v_fma_f64 v[159:160], v[2:3], s[18:19], v[18:19]
	v_fma_f64 v[163:164], v[2:3], s[18:19], v[6:7]
	v_add_f64_e32 v[6:7], v[114:115], v[167:168]
	v_add_f64_e32 v[2:3], v[171:172], v[175:176]
	v_add_f64_e64 v[18:19], v[167:168], -v[171:172]
	v_fma_f64 v[12:13], v[8:9], s[16:17], v[4:5]
	v_fma_f64 v[4:5], v[8:9], s[14:15], v[4:5]
	v_add_f64_e32 v[6:7], v[6:7], v[171:172]
	v_fma_f64 v[2:3], v[2:3], -0.5, v[114:115]
	s_delay_alu instid0(VALU_DEP_4) | instskip(NEXT) | instid1(VALU_DEP_4)
	v_fma_f64 v[12:13], v[10:11], s[0:1], v[12:13]
	v_fma_f64 v[4:5], v[10:11], s[8:9], v[4:5]
	s_delay_alu instid0(VALU_DEP_4) | instskip(NEXT) | instid1(VALU_DEP_3)
	v_add_f64_e32 v[6:7], v[6:7], v[175:176]
	v_fma_f64 v[157:158], v[0:1], s[18:19], v[12:13]
	s_delay_alu instid0(VALU_DEP_3) | instskip(SKIP_4) | instid1(VALU_DEP_4)
	v_fma_f64 v[161:162], v[0:1], s[18:19], v[4:5]
	v_add_f64_e32 v[4:5], v[112:113], v[165:166]
	v_add_f64_e32 v[0:1], v[169:170], v[173:174]
	v_add_f64_e64 v[12:13], v[165:166], -v[169:170]
	v_add_f64_e32 v[114:115], v[6:7], v[179:180]
	v_add_f64_e32 v[4:5], v[4:5], v[169:170]
	s_delay_alu instid0(VALU_DEP_4) | instskip(NEXT) | instid1(VALU_DEP_4)
	v_fma_f64 v[0:1], v[0:1], -0.5, v[112:113]
	v_add_f64_e32 v[12:13], v[12:13], v[93:94]
	s_delay_alu instid0(VALU_DEP_3) | instskip(NEXT) | instid1(VALU_DEP_3)
	v_add_f64_e32 v[4:5], v[4:5], v[173:174]
	v_fma_f64 v[6:7], v[10:11], s[14:15], v[0:1]
	v_fma_f64 v[0:1], v[10:11], s[16:17], v[0:1]
	;; [unrolled: 1-line block ×4, first 2 shown]
	v_lshlrev_b32_e32 v16, 5, v120
	v_add_f64_e32 v[112:113], v[4:5], v[177:178]
	v_add_f64_e64 v[4:5], v[179:180], -v[175:176]
	v_fma_f64 v[6:7], v[8:9], s[0:1], v[6:7]
	v_fma_f64 v[0:1], v[8:9], s[8:9], v[0:1]
	;; [unrolled: 1-line block ×4, first 2 shown]
	v_add_f64_e32 v[4:5], v[18:19], v[4:5]
	v_fma_f64 v[165:166], v[12:13], s[18:19], v[6:7]
	v_fma_f64 v[169:170], v[12:13], s[18:19], v[0:1]
	v_and_b32_e32 v0, 0xff, v20
	v_lshlrev_b32_e32 v20, 5, v255
	s_delay_alu instid0(VALU_DEP_2) | instskip(SKIP_4) | instid1(VALU_DEP_3)
	v_lshl_add_u32 v208, v0, 4, v22
	v_add_co_u32 v0, s0, s2, v92
	s_wait_alu 0xf1ff
	v_add_co_ci_u32_e64 v1, null, s3, 0, s0
	v_add_nc_u32_e32 v21, 0x420, v20
	v_sub_co_u32 v0, s0, v0, v20
	s_wait_alu 0xf1ff
	s_delay_alu instid0(VALU_DEP_3)
	v_subrev_co_ci_u32_e64 v1, s0, 0, v1, s0
	v_add_nc_u32_e32 v20, 0x580, v20
	s_mov_b32 s0, 0xe8584caa
	s_mov_b32 s1, 0x3febb67a
	v_fma_f64 v[167:168], v[4:5], s[18:19], v[8:9]
	v_fma_f64 v[171:172], v[4:5], s[18:19], v[2:3]
	ds_store_b128 v208, v[112:115] offset:1760
	ds_store_b128 v208, v[165:168] offset:1936
	;; [unrolled: 1-line block ×5, first 2 shown]
	global_wb scope:SCOPE_SE
	s_wait_dscnt 0x0
	s_barrier_signal -1
	s_barrier_wait -1
	global_inv scope:SCOPE_SE
	s_clause 0x1
	global_load_b128 v[88:91], v[0:1], off offset:704
	global_load_b128 v[92:95], v[0:1], off offset:720
	ds_load_b128 v[112:115], v219 offset:880
	ds_load_b128 v[148:151], v219 offset:704
	v_lshlrev_b32_e32 v8, 5, v116
	s_wait_loadcnt_dscnt 0x101
	v_mul_f64_e32 v[0:1], v[114:115], v[90:91]
	v_mul_f64_e32 v[2:3], v[112:113], v[90:91]
	s_delay_alu instid0(VALU_DEP_2) | instskip(NEXT) | instid1(VALU_DEP_2)
	v_fma_f64 v[0:1], v[112:113], v[88:89], -v[0:1]
	v_fma_f64 v[2:3], v[114:115], v[88:89], v[2:3]
	ds_load_b128 v[112:115], v219 offset:1760
	ds_load_b128 v[121:124], v219 offset:1936
	s_wait_loadcnt_dscnt 0x1
	v_mul_f64_e32 v[4:5], v[114:115], v[94:95]
	v_mul_f64_e32 v[6:7], v[112:113], v[94:95]
	s_delay_alu instid0(VALU_DEP_2) | instskip(NEXT) | instid1(VALU_DEP_2)
	v_fma_f64 v[4:5], v[112:113], v[92:93], -v[4:5]
	v_fma_f64 v[6:7], v[114:115], v[92:93], v[6:7]
	s_clause 0x1
	global_load_b128 v[116:119], v8, s[2:3] offset:704
	global_load_b128 v[112:115], v8, s[2:3] offset:720
	ds_load_b128 v[125:128], v219 offset:1056
	ds_load_b128 v[129:132], v219 offset:1232
	v_add_f64_e32 v[160:161], v[0:1], v[4:5]
	s_wait_loadcnt_dscnt 0x101
	v_mul_f64_e32 v[8:9], v[127:128], v[118:119]
	v_mul_f64_e32 v[10:11], v[125:126], v[118:119]
	s_wait_loadcnt 0x0
	v_mul_f64_e32 v[12:13], v[123:124], v[114:115]
	v_mul_f64_e32 v[14:15], v[121:122], v[114:115]
	s_delay_alu instid0(VALU_DEP_4) | instskip(NEXT) | instid1(VALU_DEP_4)
	v_fma_f64 v[8:9], v[125:126], v[116:117], -v[8:9]
	v_fma_f64 v[10:11], v[127:128], v[116:117], v[10:11]
	s_delay_alu instid0(VALU_DEP_4) | instskip(NEXT) | instid1(VALU_DEP_4)
	v_fma_f64 v[12:13], v[121:122], v[112:113], -v[12:13]
	v_fma_f64 v[14:15], v[123:124], v[112:113], v[14:15]
	s_clause 0x1
	global_load_b128 v[124:127], v16, s[2:3] offset:704
	global_load_b128 v[120:123], v16, s[2:3] offset:720
	s_wait_loadcnt_dscnt 0x100
	v_mul_f64_e32 v[16:17], v[131:132], v[126:127]
	v_mul_f64_e32 v[18:19], v[129:130], v[126:127]
	s_delay_alu instid0(VALU_DEP_2) | instskip(NEXT) | instid1(VALU_DEP_2)
	v_fma_f64 v[16:17], v[129:130], v[124:125], -v[16:17]
	v_fma_f64 v[18:19], v[131:132], v[124:125], v[18:19]
	ds_load_b128 v[128:131], v219 offset:2112
	ds_load_b128 v[136:139], v219 offset:2288
	s_wait_loadcnt_dscnt 0x1
	v_mul_f64_e32 v[132:133], v[130:131], v[122:123]
	s_delay_alu instid0(VALU_DEP_1) | instskip(SKIP_1) | instid1(VALU_DEP_1)
	v_fma_f64 v[156:157], v[128:129], v[120:121], -v[132:133]
	v_mul_f64_e32 v[128:129], v[128:129], v[122:123]
	v_fma_f64 v[158:159], v[130:131], v[120:121], v[128:129]
	s_clause 0x1
	global_load_b128 v[132:135], v21, s[2:3] offset:704
	global_load_b128 v[128:131], v21, s[2:3] offset:720
	ds_load_b128 v[140:143], v219 offset:1408
	ds_load_b128 v[144:147], v219 offset:1584
	s_wait_loadcnt_dscnt 0x101
	v_mul_f64_e32 v[152:153], v[142:143], v[134:135]
	s_delay_alu instid0(VALU_DEP_1) | instskip(SKIP_1) | instid1(VALU_DEP_1)
	v_fma_f64 v[200:201], v[140:141], v[132:133], -v[152:153]
	v_mul_f64_e32 v[140:141], v[140:141], v[134:135]
	v_fma_f64 v[196:197], v[142:143], v[132:133], v[140:141]
	s_wait_loadcnt 0x0
	v_mul_f64_e32 v[140:141], v[138:139], v[130:131]
	s_delay_alu instid0(VALU_DEP_1) | instskip(SKIP_1) | instid1(VALU_DEP_1)
	v_fma_f64 v[202:203], v[136:137], v[128:129], -v[140:141]
	v_mul_f64_e32 v[136:137], v[136:137], v[130:131]
	v_fma_f64 v[198:199], v[138:139], v[128:129], v[136:137]
	s_clause 0x1
	global_load_b128 v[140:143], v20, s[2:3] offset:704
	global_load_b128 v[136:139], v20, s[2:3] offset:720
	s_mov_b32 s3, 0xbfebb67a
	s_wait_alu 0xfffe
	s_mov_b32 s2, s0
	s_wait_loadcnt_dscnt 0x100
	v_mul_f64_e32 v[152:153], v[146:147], v[142:143]
	s_delay_alu instid0(VALU_DEP_1) | instskip(SKIP_1) | instid1(VALU_DEP_1)
	v_fma_f64 v[209:210], v[144:145], v[140:141], -v[152:153]
	v_mul_f64_e32 v[144:145], v[144:145], v[142:143]
	v_fma_f64 v[211:212], v[146:147], v[140:141], v[144:145]
	ds_load_b128 v[144:147], v219 offset:2464
	s_wait_loadcnt_dscnt 0x0
	v_mul_f64_e32 v[152:153], v[146:147], v[138:139]
	s_delay_alu instid0(VALU_DEP_1) | instskip(SKIP_1) | instid1(VALU_DEP_1)
	v_fma_f64 v[213:214], v[144:145], v[136:137], -v[152:153]
	v_mul_f64_e32 v[144:145], v[144:145], v[138:139]
	v_fma_f64 v[215:216], v[146:147], v[136:137], v[144:145]
	ds_load_b128 v[144:147], v219
	ds_load_b128 v[152:155], v219 offset:176
	s_wait_dscnt 0x1
	v_fma_f64 v[166:167], v[160:161], -0.5, v[144:145]
	v_add_f64_e32 v[160:161], v[2:3], v[6:7]
	v_add_f64_e32 v[144:145], v[144:145], v[0:1]
	v_add_f64_e64 v[0:1], v[0:1], -v[4:5]
	s_delay_alu instid0(VALU_DEP_3)
	v_fma_f64 v[170:171], v[160:161], -0.5, v[146:147]
	v_add_f64_e32 v[146:147], v[146:147], v[2:3]
	v_add_f64_e64 v[2:3], v[2:3], -v[6:7]
	v_add_f64_e32 v[160:161], v[144:145], v[4:5]
	s_wait_dscnt 0x0
	v_add_f64_e32 v[4:5], v[154:155], v[10:11]
	s_delay_alu instid0(VALU_DEP_4) | instskip(NEXT) | instid1(VALU_DEP_4)
	v_add_f64_e32 v[162:163], v[146:147], v[6:7]
	v_fma_f64 v[164:165], v[2:3], s[0:1], v[166:167]
	s_wait_alu 0xfffe
	v_fma_f64 v[168:169], v[2:3], s[2:3], v[166:167]
	v_fma_f64 v[166:167], v[0:1], s[2:3], v[170:171]
	;; [unrolled: 1-line block ×3, first 2 shown]
	v_add_f64_e32 v[0:1], v[8:9], v[12:13]
	v_add_f64_e32 v[2:3], v[10:11], v[14:15]
	v_add_f64_e64 v[10:11], v[10:11], -v[14:15]
	v_add_f64_e32 v[174:175], v[4:5], v[14:15]
	v_add_f64_e64 v[4:5], v[8:9], -v[12:13]
	v_add_f64_e32 v[6:7], v[152:153], v[8:9]
	v_add_f64_e64 v[8:9], v[18:19], -v[158:159]
	v_fma_f64 v[0:1], v[0:1], -0.5, v[152:153]
	v_fma_f64 v[2:3], v[2:3], -0.5, v[154:155]
	ds_load_b128 v[144:147], v219 offset:352
	ds_load_b128 v[152:155], v219 offset:528
	v_add_f64_e32 v[172:173], v[6:7], v[12:13]
	s_wait_dscnt 0x1
	v_add_f64_e32 v[6:7], v[144:145], v[16:17]
	v_fma_f64 v[176:177], v[10:11], s[0:1], v[0:1]
	v_fma_f64 v[180:181], v[10:11], s[2:3], v[0:1]
	;; [unrolled: 1-line block ×4, first 2 shown]
	v_add_f64_e32 v[0:1], v[16:17], v[156:157]
	v_add_f64_e32 v[2:3], v[18:19], v[158:159]
	;; [unrolled: 1-line block ×4, first 2 shown]
	s_wait_dscnt 0x0
	v_add_f64_e32 v[6:7], v[152:153], v[200:201]
	v_fma_f64 v[0:1], v[0:1], -0.5, v[144:145]
	v_fma_f64 v[2:3], v[2:3], -0.5, v[146:147]
	v_add_f64_e32 v[186:187], v[4:5], v[158:159]
	v_add_f64_e64 v[4:5], v[16:17], -v[156:157]
	s_delay_alu instid0(VALU_DEP_4) | instskip(SKIP_2) | instid1(VALU_DEP_4)
	v_fma_f64 v[188:189], v[8:9], s[0:1], v[0:1]
	v_fma_f64 v[192:193], v[8:9], s[2:3], v[0:1]
	v_add_f64_e32 v[0:1], v[200:201], v[202:203]
	v_fma_f64 v[190:191], v[4:5], s[2:3], v[2:3]
	v_fma_f64 v[194:195], v[4:5], s[0:1], v[2:3]
	v_add_f64_e32 v[2:3], v[196:197], v[198:199]
	v_add_f64_e32 v[4:5], v[154:155], v[196:197]
	v_add_f64_e64 v[8:9], v[196:197], -v[198:199]
	v_add_f64_e32 v[196:197], v[6:7], v[202:203]
	v_add_f64_e32 v[6:7], v[148:149], v[209:210]
	v_fma_f64 v[0:1], v[0:1], -0.5, v[152:153]
	v_fma_f64 v[2:3], v[2:3], -0.5, v[154:155]
	v_add_f64_e32 v[198:199], v[4:5], v[198:199]
	v_add_f64_e64 v[4:5], v[200:201], -v[202:203]
	s_delay_alu instid0(VALU_DEP_4)
	v_fma_f64 v[200:201], v[8:9], s[0:1], v[0:1]
	v_fma_f64 v[144:145], v[8:9], s[2:3], v[0:1]
	v_add_f64_e32 v[0:1], v[209:210], v[213:214]
	v_add_f64_e64 v[8:9], v[211:212], -v[215:216]
	v_fma_f64 v[202:203], v[4:5], s[2:3], v[2:3]
	v_fma_f64 v[146:147], v[4:5], s[0:1], v[2:3]
	v_add_f64_e32 v[2:3], v[211:212], v[215:216]
	v_add_f64_e32 v[4:5], v[150:151], v[211:212]
	v_fma_f64 v[0:1], v[0:1], -0.5, v[148:149]
	v_add_f64_e32 v[148:149], v[6:7], v[213:214]
	s_delay_alu instid0(VALU_DEP_4) | instskip(NEXT) | instid1(VALU_DEP_4)
	v_fma_f64 v[2:3], v[2:3], -0.5, v[150:151]
	v_add_f64_e32 v[150:151], v[4:5], v[215:216]
	v_add_f64_e64 v[4:5], v[209:210], -v[213:214]
	v_fma_f64 v[152:153], v[8:9], s[0:1], v[0:1]
	v_fma_f64 v[156:157], v[8:9], s[2:3], v[0:1]
	s_delay_alu instid0(VALU_DEP_3)
	v_fma_f64 v[154:155], v[4:5], s[2:3], v[2:3]
	v_fma_f64 v[158:159], v[4:5], s[0:1], v[2:3]
	ds_store_b128 v207, v[172:175] offset:176
	ds_store_b128 v207, v[184:187] offset:352
	;; [unrolled: 1-line block ×6, first 2 shown]
	ds_store_b128 v219, v[160:163]
	ds_store_b128 v219, v[188:191] offset:1232
	ds_store_b128 v219, v[192:195] offset:2112
	;; [unrolled: 1-line block ×8, first 2 shown]
	global_wb scope:SCOPE_SE
	s_wait_dscnt 0x0
	s_barrier_signal -1
	s_barrier_wait -1
	global_inv scope:SCOPE_SE
	global_load_b128 v[160:163], v[204:205], off offset:2640
	s_add_nc_u64 s[0:1], s[12:13], 0xa50
	ds_load_b128 v[164:167], v219
	ds_load_b128 v[168:171], v219 offset:240
	s_clause 0x1
	global_load_b128 v[172:175], v224, s[0:1] offset:240
	global_load_b128 v[176:179], v224, s[0:1] offset:480
	s_wait_loadcnt_dscnt 0x201
	v_mul_f64_e32 v[0:1], v[166:167], v[162:163]
	v_mul_f64_e32 v[2:3], v[164:165], v[162:163]
	s_delay_alu instid0(VALU_DEP_2) | instskip(NEXT) | instid1(VALU_DEP_2)
	v_fma_f64 v[162:163], v[164:165], v[160:161], -v[0:1]
	v_fma_f64 v[164:165], v[166:167], v[160:161], v[2:3]
	s_wait_loadcnt_dscnt 0x100
	v_mul_f64_e32 v[0:1], v[170:171], v[174:175]
	v_mul_f64_e32 v[2:3], v[168:169], v[174:175]
	s_delay_alu instid0(VALU_DEP_2) | instskip(NEXT) | instid1(VALU_DEP_2)
	v_fma_f64 v[166:167], v[168:169], v[172:173], -v[0:1]
	v_fma_f64 v[168:169], v[170:171], v[172:173], v[2:3]
	ds_load_b128 v[170:173], v219 offset:480
	ds_load_b128 v[180:183], v219 offset:720
	s_wait_loadcnt_dscnt 0x1
	v_mul_f64_e32 v[0:1], v[172:173], v[178:179]
	v_mul_f64_e32 v[2:3], v[170:171], v[178:179]
	s_delay_alu instid0(VALU_DEP_2) | instskip(NEXT) | instid1(VALU_DEP_2)
	v_fma_f64 v[170:171], v[170:171], v[176:177], -v[0:1]
	v_fma_f64 v[172:173], v[172:173], v[176:177], v[2:3]
	s_clause 0x1
	global_load_b128 v[174:177], v224, s[0:1] offset:720
	global_load_b128 v[184:187], v224, s[0:1] offset:960
	s_wait_loadcnt_dscnt 0x100
	v_mul_f64_e32 v[0:1], v[182:183], v[176:177]
	v_mul_f64_e32 v[2:3], v[180:181], v[176:177]
	s_delay_alu instid0(VALU_DEP_2) | instskip(NEXT) | instid1(VALU_DEP_2)
	v_fma_f64 v[176:177], v[180:181], v[174:175], -v[0:1]
	v_fma_f64 v[178:179], v[182:183], v[174:175], v[2:3]
	ds_load_b128 v[180:183], v219 offset:960
	ds_load_b128 v[188:191], v219 offset:1200
	s_wait_loadcnt_dscnt 0x1
	v_mul_f64_e32 v[0:1], v[182:183], v[186:187]
	v_mul_f64_e32 v[2:3], v[180:181], v[186:187]
	s_delay_alu instid0(VALU_DEP_2) | instskip(NEXT) | instid1(VALU_DEP_2)
	v_fma_f64 v[180:181], v[180:181], v[184:185], -v[0:1]
	v_fma_f64 v[182:183], v[182:183], v[184:185], v[2:3]
	s_clause 0x1
	global_load_b128 v[184:187], v224, s[0:1] offset:1200
	global_load_b128 v[192:195], v224, s[0:1] offset:1440
	ds_load_b128 v[196:199], v219 offset:1440
	ds_load_b128 v[200:203], v219 offset:1680
	s_wait_loadcnt_dscnt 0x102
	v_mul_f64_e32 v[0:1], v[190:191], v[186:187]
	v_mul_f64_e32 v[2:3], v[188:189], v[186:187]
	s_delay_alu instid0(VALU_DEP_2) | instskip(SKIP_2) | instid1(VALU_DEP_3)
	v_fma_f64 v[186:187], v[188:189], v[184:185], -v[0:1]
	s_wait_loadcnt_dscnt 0x1
	v_mul_f64_e32 v[0:1], v[198:199], v[194:195]
	v_fma_f64 v[188:189], v[190:191], v[184:185], v[2:3]
	v_mul_f64_e32 v[2:3], v[196:197], v[194:195]
	s_delay_alu instid0(VALU_DEP_3)
	v_fma_f64 v[190:191], v[196:197], v[192:193], -v[0:1]
	s_clause 0x1
	global_load_b128 v[194:197], v224, s[0:1] offset:1680
	global_load_b128 v[209:212], v224, s[0:1] offset:1920
	v_fma_f64 v[192:193], v[198:199], v[192:193], v[2:3]
	s_wait_loadcnt_dscnt 0x100
	v_mul_f64_e32 v[0:1], v[202:203], v[196:197]
	v_mul_f64_e32 v[2:3], v[200:201], v[196:197]
	s_delay_alu instid0(VALU_DEP_2) | instskip(NEXT) | instid1(VALU_DEP_2)
	v_fma_f64 v[196:197], v[200:201], v[194:195], -v[0:1]
	v_fma_f64 v[198:199], v[202:203], v[194:195], v[2:3]
	ds_load_b128 v[200:203], v219 offset:1920
	ds_load_b128 v[213:216], v219 offset:2160
	s_wait_loadcnt_dscnt 0x1
	v_mul_f64_e32 v[0:1], v[202:203], v[211:212]
	v_mul_f64_e32 v[2:3], v[200:201], v[211:212]
	s_delay_alu instid0(VALU_DEP_2) | instskip(NEXT) | instid1(VALU_DEP_2)
	v_fma_f64 v[200:201], v[200:201], v[209:210], -v[0:1]
	v_fma_f64 v[202:203], v[202:203], v[209:210], v[2:3]
	s_clause 0x1
	global_load_b128 v[209:212], v224, s[0:1] offset:2160
	global_load_b128 v[227:230], v224, s[0:1] offset:2400
	s_wait_loadcnt_dscnt 0x100
	v_mul_f64_e32 v[0:1], v[215:216], v[211:212]
	v_mul_f64_e32 v[2:3], v[213:214], v[211:212]
	s_delay_alu instid0(VALU_DEP_2) | instskip(NEXT) | instid1(VALU_DEP_2)
	v_fma_f64 v[211:212], v[213:214], v[209:210], -v[0:1]
	v_fma_f64 v[213:214], v[215:216], v[209:210], v[2:3]
	ds_load_b128 v[215:218], v219 offset:2400
	s_wait_loadcnt_dscnt 0x0
	v_mul_f64_e32 v[0:1], v[217:218], v[229:230]
	v_mul_f64_e32 v[2:3], v[215:216], v[229:230]
	s_delay_alu instid0(VALU_DEP_2) | instskip(NEXT) | instid1(VALU_DEP_2)
	v_fma_f64 v[215:216], v[215:216], v[227:228], -v[0:1]
	v_fma_f64 v[217:218], v[217:218], v[227:228], v[2:3]
	ds_store_b128 v219, v[162:165]
	ds_store_b128 v219, v[166:169] offset:240
	ds_store_b128 v219, v[170:173] offset:480
	;; [unrolled: 1-line block ×10, first 2 shown]
	s_and_saveexec_b32 s2, vcc_lo
	s_cbranch_execz .LBB0_9
; %bb.8:
	s_wait_alu 0xfffe
	v_add_co_u32 v0, s0, s0, v224
	s_wait_alu 0xf1ff
	v_add_co_ci_u32_e64 v1, null, s1, 0, s0
	s_clause 0x5
	global_load_b128 v[160:163], v[0:1], off offset:176
	global_load_b128 v[164:167], v[0:1], off offset:416
	;; [unrolled: 1-line block ×6, first 2 shown]
	ds_load_b128 v[184:187], v207 offset:176
	ds_load_b128 v[188:191], v207 offset:416
	s_wait_loadcnt_dscnt 0x501
	v_mul_f64_e32 v[2:3], v[186:187], v[162:163]
	v_mul_f64_e32 v[4:5], v[184:185], v[162:163]
	s_wait_loadcnt_dscnt 0x400
	v_mul_f64_e32 v[6:7], v[190:191], v[166:167]
	s_delay_alu instid0(VALU_DEP_3) | instskip(SKIP_1) | instid1(VALU_DEP_4)
	v_fma_f64 v[184:185], v[184:185], v[160:161], -v[2:3]
	v_mul_f64_e32 v[2:3], v[188:189], v[166:167]
	v_fma_f64 v[186:187], v[186:187], v[160:161], v[4:5]
	ds_load_b128 v[160:163], v207 offset:656
	v_fma_f64 v[188:189], v[188:189], v[164:165], -v[6:7]
	v_fma_f64 v[190:191], v[190:191], v[164:165], v[2:3]
	ds_load_b128 v[164:167], v207 offset:896
	s_wait_loadcnt_dscnt 0x301
	v_mul_f64_e32 v[2:3], v[162:163], v[170:171]
	v_mul_f64_e32 v[4:5], v[160:161], v[170:171]
	s_wait_loadcnt_dscnt 0x200
	v_mul_f64_e32 v[6:7], v[166:167], v[174:175]
	s_delay_alu instid0(VALU_DEP_3) | instskip(SKIP_1) | instid1(VALU_DEP_4)
	v_fma_f64 v[160:161], v[160:161], v[168:169], -v[2:3]
	v_mul_f64_e32 v[2:3], v[164:165], v[174:175]
	v_fma_f64 v[162:163], v[162:163], v[168:169], v[4:5]
	ds_load_b128 v[168:171], v207 offset:1136
	v_fma_f64 v[164:165], v[164:165], v[172:173], -v[6:7]
	v_fma_f64 v[166:167], v[166:167], v[172:173], v[2:3]
	ds_load_b128 v[172:175], v207 offset:1376
	s_wait_loadcnt_dscnt 0x101
	v_mul_f64_e32 v[2:3], v[170:171], v[178:179]
	v_mul_f64_e32 v[4:5], v[168:169], v[178:179]
	s_wait_loadcnt_dscnt 0x0
	v_mul_f64_e32 v[6:7], v[174:175], v[182:183]
	s_delay_alu instid0(VALU_DEP_3) | instskip(NEXT) | instid1(VALU_DEP_3)
	v_fma_f64 v[168:169], v[168:169], v[176:177], -v[2:3]
	v_fma_f64 v[170:171], v[170:171], v[176:177], v[4:5]
	global_load_b128 v[176:179], v[0:1], off offset:1616
	v_mul_f64_e32 v[2:3], v[172:173], v[182:183]
	v_fma_f64 v[172:173], v[172:173], v[180:181], -v[6:7]
	s_delay_alu instid0(VALU_DEP_2)
	v_fma_f64 v[174:175], v[174:175], v[180:181], v[2:3]
	global_load_b128 v[180:183], v[0:1], off offset:1856
	ds_load_b128 v[192:195], v207 offset:1616
	ds_load_b128 v[196:199], v207 offset:1856
	s_wait_loadcnt_dscnt 0x101
	v_mul_f64_e32 v[2:3], v[194:195], v[178:179]
	v_mul_f64_e32 v[4:5], v[192:193], v[178:179]
	s_delay_alu instid0(VALU_DEP_2) | instskip(NEXT) | instid1(VALU_DEP_2)
	v_fma_f64 v[192:193], v[192:193], v[176:177], -v[2:3]
	v_fma_f64 v[194:195], v[194:195], v[176:177], v[4:5]
	s_wait_loadcnt_dscnt 0x0
	v_mul_f64_e32 v[2:3], v[198:199], v[182:183]
	v_mul_f64_e32 v[4:5], v[196:197], v[182:183]
	s_delay_alu instid0(VALU_DEP_2) | instskip(NEXT) | instid1(VALU_DEP_2)
	v_fma_f64 v[176:177], v[196:197], v[180:181], -v[2:3]
	v_fma_f64 v[178:179], v[198:199], v[180:181], v[4:5]
	s_clause 0x1
	global_load_b128 v[180:183], v[0:1], off offset:2096
	global_load_b128 v[196:199], v[0:1], off offset:2336
	ds_load_b128 v[200:203], v207 offset:2096
	ds_load_b128 v[209:212], v207 offset:2336
	s_wait_loadcnt_dscnt 0x101
	v_mul_f64_e32 v[2:3], v[202:203], v[182:183]
	v_mul_f64_e32 v[4:5], v[200:201], v[182:183]
	s_delay_alu instid0(VALU_DEP_2) | instskip(NEXT) | instid1(VALU_DEP_2)
	v_fma_f64 v[200:201], v[200:201], v[180:181], -v[2:3]
	v_fma_f64 v[202:203], v[202:203], v[180:181], v[4:5]
	s_wait_loadcnt_dscnt 0x0
	v_mul_f64_e32 v[2:3], v[211:212], v[198:199]
	v_mul_f64_e32 v[4:5], v[209:210], v[198:199]
	s_delay_alu instid0(VALU_DEP_2) | instskip(NEXT) | instid1(VALU_DEP_2)
	v_fma_f64 v[180:181], v[209:210], v[196:197], -v[2:3]
	v_fma_f64 v[182:183], v[211:212], v[196:197], v[4:5]
	global_load_b128 v[196:199], v[0:1], off offset:2576
	ds_load_b128 v[209:212], v207 offset:2576
	s_wait_loadcnt_dscnt 0x0
	v_mul_f64_e32 v[0:1], v[211:212], v[198:199]
	v_mul_f64_e32 v[2:3], v[209:210], v[198:199]
	s_delay_alu instid0(VALU_DEP_2) | instskip(NEXT) | instid1(VALU_DEP_2)
	v_fma_f64 v[209:210], v[209:210], v[196:197], -v[0:1]
	v_fma_f64 v[211:212], v[211:212], v[196:197], v[2:3]
	ds_store_b128 v207, v[184:187] offset:176
	ds_store_b128 v207, v[188:191] offset:416
	;; [unrolled: 1-line block ×11, first 2 shown]
.LBB0_9:
	s_wait_alu 0xfffe
	s_or_b32 exec_lo, exec_lo, s2
	global_wb scope:SCOPE_SE
	s_wait_dscnt 0x0
	s_barrier_signal -1
	s_barrier_wait -1
	global_inv scope:SCOPE_SE
	ds_load_b128 v[160:163], v219
	ds_load_b128 v[168:171], v219 offset:240
	ds_load_b128 v[176:179], v219 offset:480
	ds_load_b128 v[184:187], v219 offset:720
	ds_load_b128 v[192:195], v219 offset:960
	ds_load_b128 v[200:203], v219 offset:1200
	ds_load_b128 v[196:199], v219 offset:1440
	ds_load_b128 v[188:191], v219 offset:1680
	ds_load_b128 v[180:183], v219 offset:1920
	ds_load_b128 v[172:175], v219 offset:2160
	ds_load_b128 v[164:167], v219 offset:2400
	s_and_saveexec_b32 s0, vcc_lo
	s_cbranch_execz .LBB0_11
; %bb.10:
	ds_load_b128 v[144:147], v207 offset:176
	ds_load_b128 v[148:151], v207 offset:416
	;; [unrolled: 1-line block ×11, first 2 shown]
.LBB0_11:
	s_wait_alu 0xfffe
	s_or_b32 exec_lo, exec_lo, s0
	s_wait_dscnt 0x9
	v_add_f64_e32 v[0:1], v[160:161], v[168:169]
	v_add_f64_e32 v[2:3], v[162:163], v[170:171]
	s_wait_dscnt 0x1
	v_add_f64_e32 v[209:210], v[176:177], v[172:173]
	v_add_f64_e64 v[211:212], v[176:177], -v[172:173]
	s_mov_b32 s24, 0xf8bb580b
	s_mov_b32 s20, 0x8eee2c13
	;; [unrolled: 1-line block ×10, first 2 shown]
	v_add_f64_e32 v[4:5], v[200:201], v[196:197]
	v_add_f64_e32 v[6:7], v[202:203], v[198:199]
	v_add_f64_e64 v[8:9], v[200:201], -v[196:197]
	v_add_f64_e64 v[10:11], v[202:203], -v[198:199]
	v_add_f64_e32 v[14:15], v[194:195], v[190:191]
	v_add_f64_e64 v[18:19], v[194:195], -v[190:191]
	s_mov_b32 s22, 0x8764f0ba
	s_mov_b32 s14, 0xd9c712b6
	;; [unrolled: 1-line block ×10, first 2 shown]
	v_add_f64_e32 v[12:13], v[192:193], v[188:189]
	v_add_f64_e64 v[16:17], v[192:193], -v[188:189]
	s_wait_alu 0xfffe
	s_mov_b32 s30, s24
	s_mov_b32 s27, 0x3fed1bb4
	;; [unrolled: 1-line block ×6, first 2 shown]
	v_add_f64_e32 v[0:1], v[0:1], v[176:177]
	v_add_f64_e32 v[2:3], v[2:3], v[178:179]
	s_mov_b32 s36, s16
	s_mov_b32 s28, s12
	global_wb scope:SCOPE_SE
	s_wait_dscnt 0x0
	s_barrier_signal -1
	s_barrier_wait -1
	global_inv scope:SCOPE_SE
	v_mul_f64_e32 v[251:252], s[0:1], v[6:7]
	v_mul_f64_e32 v[36:37], s[14:15], v[6:7]
	;; [unrolled: 1-line block ×8, first 2 shown]
	v_add_f64_e32 v[0:1], v[0:1], v[184:185]
	v_add_f64_e32 v[2:3], v[2:3], v[186:187]
	v_fma_f64 v[38:39], v[8:9], s[20:21], v[36:37]
	v_fma_f64 v[26:27], v[4:5], s[2:3], v[24:25]
	s_wait_alu 0xfffe
	v_fma_f64 v[34:35], v[16:17], s[28:29], v[32:33]
	v_add_f64_e32 v[0:1], v[0:1], v[192:193]
	v_add_f64_e32 v[2:3], v[2:3], v[194:195]
	s_delay_alu instid0(VALU_DEP_2) | instskip(NEXT) | instid1(VALU_DEP_2)
	v_add_f64_e32 v[0:1], v[0:1], v[200:201]
	v_add_f64_e32 v[2:3], v[2:3], v[202:203]
	;; [unrolled: 1-line block ×3, first 2 shown]
	v_add_f64_e64 v[202:203], v[184:185], -v[180:181]
	v_add_f64_e64 v[184:185], v[178:179], -v[174:175]
	v_add_f64_e32 v[0:1], v[0:1], v[196:197]
	v_add_f64_e32 v[2:3], v[2:3], v[198:199]
	s_delay_alu instid0(VALU_DEP_3) | instskip(NEXT) | instid1(VALU_DEP_3)
	v_mul_f64_e32 v[237:238], s[20:21], v[184:185]
	v_add_f64_e32 v[0:1], v[0:1], v[188:189]
	s_delay_alu instid0(VALU_DEP_3)
	v_add_f64_e32 v[2:3], v[2:3], v[190:191]
	v_add_f64_e32 v[190:191], v[178:179], v[174:175]
	v_add_f64_e64 v[188:189], v[186:187], -v[182:183]
	v_add_f64_e32 v[186:187], v[186:187], v[182:183]
	v_add_f64_e32 v[0:1], v[0:1], v[180:181]
	;; [unrolled: 1-line block ×3, first 2 shown]
	v_mul_f64_e32 v[239:240], s[14:15], v[190:191]
	v_mul_f64_e32 v[241:242], s[18:19], v[188:189]
	;; [unrolled: 1-line block ×3, first 2 shown]
	v_add_f64_e32 v[0:1], v[0:1], v[172:173]
	v_add_f64_e32 v[2:3], v[2:3], v[174:175]
	v_add_f64_e64 v[172:173], v[170:171], -v[166:167]
	v_add_f64_e32 v[174:175], v[168:169], v[164:165]
	v_add_f64_e32 v[170:171], v[170:171], v[166:167]
	v_add_f64_e64 v[168:169], v[168:169], -v[164:165]
	v_add_f64_e32 v[164:165], v[0:1], v[164:165]
	v_add_f64_e32 v[166:167], v[2:3], v[166:167]
	v_mul_f64_e32 v[0:1], s[24:25], v[172:173]
	v_mul_f64_e32 v[2:3], s[20:21], v[172:173]
	;; [unrolled: 1-line block ×8, first 2 shown]
	v_fma_f64 v[180:181], v[174:175], s[22:23], v[0:1]
	v_fma_f64 v[0:1], v[174:175], s[22:23], -v[0:1]
	v_fma_f64 v[182:183], v[174:175], s[14:15], v[2:3]
	v_fma_f64 v[2:3], v[174:175], s[14:15], -v[2:3]
	;; [unrolled: 2-line block ×5, first 2 shown]
	v_mul_f64_e32 v[174:175], s[14:15], v[170:171]
	v_mul_f64_e32 v[170:171], s[22:23], v[170:171]
	v_fma_f64 v[220:221], v[168:169], s[34:35], v[198:199]
	v_fma_f64 v[198:199], v[168:169], s[18:19], v[198:199]
	;; [unrolled: 1-line block ×6, first 2 shown]
	v_add_f64_e32 v[0:1], v[160:161], v[0:1]
	v_add_f64_e32 v[182:183], v[160:161], v[182:183]
	v_add_f64_e32 v[2:3], v[160:161], v[2:3]
	v_add_f64_e32 v[192:193], v[160:161], v[192:193]
	v_add_f64_e32 v[194:195], v[160:161], v[194:195]
	v_add_f64_e32 v[231:232], v[160:161], v[178:179]
	v_add_f64_e32 v[196:197], v[160:161], v[196:197]
	v_add_f64_e32 v[233:234], v[160:161], v[172:173]
	v_fma_f64 v[217:218], v[168:169], s[26:27], v[174:175]
	v_fma_f64 v[229:230], v[168:169], s[30:31], v[170:171]
	;; [unrolled: 1-line block ×4, first 2 shown]
	v_add_f64_e32 v[170:171], v[160:161], v[180:181]
	v_add_f64_e32 v[220:221], v[162:163], v[220:221]
	;; [unrolled: 1-line block ×7, first 2 shown]
	v_mul_f64_e32 v[172:173], s[16:17], v[184:185]
	v_mul_f64_e32 v[178:179], s[28:29], v[188:189]
	v_add_f64_e32 v[217:218], v[162:163], v[217:218]
	v_add_f64_e32 v[180:181], v[162:163], v[229:230]
	v_add_f64_e32 v[229:230], v[160:161], v[176:177]
	v_fma_f64 v[160:161], v[209:210], s[14:15], v[237:238]
	v_add_f64_e32 v[174:175], v[162:163], v[174:175]
	v_add_f64_e32 v[235:236], v[162:163], v[168:169]
	v_fma_f64 v[162:163], v[211:212], s[26:27], v[239:240]
	v_fma_f64 v[168:169], v[200:201], s[8:9], v[241:242]
	v_mul_f64_e32 v[176:177], s[2:3], v[190:191]
	v_fma_f64 v[22:23], v[200:201], s[0:1], -v[178:179]
	v_add_f64_e32 v[160:161], v[160:161], v[170:171]
	v_add_f64_e32 v[162:163], v[162:163], v[180:181]
	v_fma_f64 v[180:181], v[200:201], s[0:1], v[178:179]
	s_delay_alu instid0(VALU_DEP_3) | instskip(SKIP_1) | instid1(VALU_DEP_1)
	v_add_f64_e32 v[160:161], v[168:169], v[160:161]
	v_fma_f64 v[168:169], v[202:203], s[34:35], v[243:244]
	v_add_f64_e32 v[162:163], v[168:169], v[162:163]
	v_fma_f64 v[168:169], v[12:13], s[2:3], v[245:246]
	s_delay_alu instid0(VALU_DEP_1) | instskip(SKIP_1) | instid1(VALU_DEP_1)
	v_add_f64_e32 v[160:161], v[168:169], v[160:161]
	v_fma_f64 v[168:169], v[16:17], s[36:37], v[247:248]
	v_add_f64_e32 v[162:163], v[168:169], v[162:163]
	v_fma_f64 v[168:169], v[4:5], s[0:1], v[249:250]
	s_delay_alu instid0(VALU_DEP_1) | instskip(SKIP_1) | instid1(VALU_DEP_1)
	v_add_f64_e32 v[168:169], v[168:169], v[160:161]
	v_fma_f64 v[160:161], v[8:9], s[28:29], v[251:252]
	v_add_f64_e32 v[170:171], v[160:161], v[162:163]
	v_fma_f64 v[160:161], v[209:210], s[2:3], v[172:173]
	v_fma_f64 v[162:163], v[211:212], s[36:37], v[176:177]
	s_delay_alu instid0(VALU_DEP_2) | instskip(NEXT) | instid1(VALU_DEP_2)
	v_add_f64_e32 v[160:161], v[160:161], v[182:183]
	v_add_f64_e32 v[162:163], v[162:163], v[217:218]
	s_delay_alu instid0(VALU_DEP_2) | instskip(SKIP_1) | instid1(VALU_DEP_1)
	v_add_f64_e32 v[160:161], v[180:181], v[160:161]
	v_mul_f64_e32 v[180:181], s[0:1], v[186:187]
	v_fma_f64 v[182:183], v[202:203], s[12:13], v[180:181]
	s_delay_alu instid0(VALU_DEP_1) | instskip(SKIP_1) | instid1(VALU_DEP_1)
	v_add_f64_e32 v[162:163], v[182:183], v[162:163]
	v_mul_f64_e32 v[182:183], s[34:35], v[18:19]
	v_fma_f64 v[217:218], v[12:13], s[8:9], v[182:183]
	s_delay_alu instid0(VALU_DEP_1) | instskip(SKIP_1) | instid1(VALU_DEP_1)
	;; [unrolled: 4-line block ×5, first 2 shown]
	v_add_f64_e32 v[162:163], v[20:21], v[162:163]
	v_fma_f64 v[20:21], v[209:210], s[2:3], -v[172:173]
	v_add_f64_e32 v[2:3], v[20:21], v[2:3]
	v_fma_f64 v[20:21], v[211:212], s[16:17], v[176:177]
	s_delay_alu instid0(VALU_DEP_2) | instskip(NEXT) | instid1(VALU_DEP_2)
	v_add_f64_e32 v[2:3], v[22:23], v[2:3]
	v_add_f64_e32 v[20:21], v[20:21], v[174:175]
	v_fma_f64 v[22:23], v[202:203], s[28:29], v[180:181]
	v_fma_f64 v[174:175], v[8:9], s[30:31], v[224:225]
	v_mul_f64_e32 v[224:225], s[24:25], v[18:19]
	v_mul_f64_e32 v[18:19], s[26:27], v[18:19]
	s_delay_alu instid0(VALU_DEP_4) | instskip(SKIP_1) | instid1(VALU_DEP_1)
	v_add_f64_e32 v[20:21], v[22:23], v[20:21]
	v_fma_f64 v[22:23], v[12:13], s[8:9], -v[182:183]
	v_add_f64_e32 v[2:3], v[22:23], v[2:3]
	v_fma_f64 v[22:23], v[16:17], s[34:35], v[217:218]
	v_mul_f64_e32 v[217:218], s[26:27], v[188:189]
	s_delay_alu instid0(VALU_DEP_2) | instskip(SKIP_1) | instid1(VALU_DEP_3)
	v_add_f64_e32 v[20:21], v[22:23], v[20:21]
	v_fma_f64 v[22:23], v[4:5], s[22:23], -v[253:254]
	v_fma_f64 v[178:179], v[200:201], s[14:15], v[217:218]
	v_mul_f64_e32 v[253:254], s[22:23], v[14:15]
	v_mul_f64_e32 v[14:15], s[14:15], v[14:15]
	v_add_f64_e32 v[174:175], v[174:175], v[20:21]
	v_add_f64_e32 v[172:173], v[22:23], v[2:3]
	v_mul_f64_e32 v[2:3], s[28:29], v[184:185]
	v_mul_f64_e32 v[22:23], s[0:1], v[190:191]
	s_delay_alu instid0(VALU_DEP_2) | instskip(NEXT) | instid1(VALU_DEP_2)
	v_fma_f64 v[20:21], v[209:210], s[0:1], v[2:3]
	v_fma_f64 v[176:177], v[211:212], s[12:13], v[22:23]
	v_fma_f64 v[2:3], v[209:210], s[0:1], -v[2:3]
	s_delay_alu instid0(VALU_DEP_3) | instskip(NEXT) | instid1(VALU_DEP_3)
	v_add_f64_e32 v[20:21], v[20:21], v[192:193]
	v_add_f64_e32 v[176:177], v[176:177], v[220:221]
	v_mul_f64_e32 v[220:221], s[14:15], v[186:187]
	v_mul_f64_e32 v[192:193], s[8:9], v[190:191]
	;; [unrolled: 1-line block ×3, first 2 shown]
	v_add_f64_e32 v[2:3], v[2:3], v[229:230]
	v_add_f64_e32 v[20:21], v[178:179], v[20:21]
	v_fma_f64 v[178:179], v[202:203], s[20:21], v[220:221]
	v_fma_f64 v[182:183], v[211:212], s[18:19], v[192:193]
	s_delay_alu instid0(VALU_DEP_2) | instskip(SKIP_1) | instid1(VALU_DEP_3)
	v_add_f64_e32 v[176:177], v[178:179], v[176:177]
	v_fma_f64 v[178:179], v[12:13], s[22:23], v[224:225]
	v_add_f64_e32 v[182:183], v[182:183], v[222:223]
	s_delay_alu instid0(VALU_DEP_2) | instskip(SKIP_1) | instid1(VALU_DEP_1)
	v_add_f64_e32 v[20:21], v[178:179], v[20:21]
	v_fma_f64 v[178:179], v[16:17], s[30:31], v[253:254]
	v_add_f64_e32 v[178:179], v[178:179], v[176:177]
	s_delay_alu instid0(VALU_DEP_3) | instskip(SKIP_2) | instid1(VALU_DEP_2)
	v_add_f64_e32 v[176:177], v[26:27], v[20:21]
	v_mul_f64_e32 v[20:21], s[2:3], v[6:7]
	v_mul_f64_e32 v[6:7], s[8:9], v[6:7]
	v_fma_f64 v[26:27], v[8:9], s[36:37], v[20:21]
	s_delay_alu instid0(VALU_DEP_1)
	v_add_f64_e32 v[178:179], v[26:27], v[178:179]
	v_mul_f64_e32 v[26:27], s[34:35], v[184:185]
	ds_store_b128 v226, v[160:163] offset:32
	v_add_nc_u32_e32 v162, 0x160, v219
	v_add_nc_u32_e32 v161, 0x210, v219
	;; [unrolled: 1-line block ×3, first 2 shown]
	ds_store_b128 v226, v[176:179] offset:48
	v_fma_f64 v[180:181], v[209:210], s[8:9], v[26:27]
	s_delay_alu instid0(VALU_DEP_1) | instskip(SKIP_2) | instid1(VALU_DEP_2)
	v_add_f64_e32 v[180:181], v[180:181], v[194:195]
	v_mul_f64_e32 v[194:195], s[24:25], v[188:189]
	v_mul_f64_e32 v[188:189], s[16:17], v[188:189]
	v_fma_f64 v[222:223], v[200:201], s[22:23], v[194:195]
	s_delay_alu instid0(VALU_DEP_1) | instskip(SKIP_1) | instid1(VALU_DEP_1)
	v_add_f64_e32 v[180:181], v[222:223], v[180:181]
	v_mul_f64_e32 v[222:223], s[22:23], v[186:187]
	v_fma_f64 v[28:29], v[202:203], s[30:31], v[222:223]
	s_delay_alu instid0(VALU_DEP_1) | instskip(SKIP_1) | instid1(VALU_DEP_2)
	v_add_f64_e32 v[28:29], v[28:29], v[182:183]
	v_fma_f64 v[182:183], v[12:13], s[0:1], v[30:31]
	v_add_f64_e32 v[28:29], v[34:35], v[28:29]
	v_mul_f64_e32 v[34:35], s[26:27], v[10:11]
	s_delay_alu instid0(VALU_DEP_3) | instskip(SKIP_1) | instid1(VALU_DEP_3)
	v_add_f64_e32 v[180:181], v[182:183], v[180:181]
	v_mul_f64_e32 v[10:11], s[18:19], v[10:11]
	v_fma_f64 v[182:183], v[4:5], s[14:15], v[34:35]
	s_delay_alu instid0(VALU_DEP_1) | instskip(SKIP_3) | instid1(VALU_DEP_2)
	v_add_f64_e32 v[180:181], v[182:183], v[180:181]
	v_add_f64_e32 v[182:183], v[38:39], v[28:29]
	v_mul_f64_e32 v[28:29], s[30:31], v[184:185]
	v_fma_f64 v[184:185], v[211:212], s[24:25], v[190:191]
	v_fma_f64 v[38:39], v[209:210], s[22:23], v[28:29]
	s_delay_alu instid0(VALU_DEP_2) | instskip(SKIP_1) | instid1(VALU_DEP_3)
	v_add_f64_e32 v[184:185], v[184:185], v[227:228]
	v_fma_f64 v[28:29], v[209:210], s[22:23], -v[28:29]
	v_add_f64_e32 v[38:39], v[38:39], v[196:197]
	v_fma_f64 v[196:197], v[200:201], s[2:3], v[188:189]
	s_delay_alu instid0(VALU_DEP_3) | instskip(SKIP_1) | instid1(VALU_DEP_3)
	v_add_f64_e32 v[28:29], v[28:29], v[233:234]
	v_fma_f64 v[188:189], v[200:201], s[2:3], -v[188:189]
	v_add_f64_e32 v[38:39], v[196:197], v[38:39]
	v_mul_f64_e32 v[196:197], s[2:3], v[186:187]
	s_delay_alu instid0(VALU_DEP_3) | instskip(NEXT) | instid1(VALU_DEP_2)
	v_add_f64_e32 v[28:29], v[188:189], v[28:29]
	v_fma_f64 v[186:187], v[202:203], s[36:37], v[196:197]
	v_fma_f64 v[188:189], v[202:203], s[16:17], v[196:197]
	s_delay_alu instid0(VALU_DEP_2) | instskip(SKIP_2) | instid1(VALU_DEP_2)
	v_add_f64_e32 v[184:185], v[186:187], v[184:185]
	v_fma_f64 v[186:187], v[12:13], s[14:15], v[18:19]
	v_fma_f64 v[18:19], v[12:13], s[14:15], -v[18:19]
	v_add_f64_e32 v[38:39], v[186:187], v[38:39]
	v_fma_f64 v[186:187], v[16:17], s[20:21], v[14:15]
	v_fma_f64 v[14:15], v[16:17], s[26:27], v[14:15]
	s_delay_alu instid0(VALU_DEP_4) | instskip(NEXT) | instid1(VALU_DEP_3)
	v_add_f64_e32 v[18:19], v[18:19], v[28:29]
	v_add_f64_e32 v[186:187], v[186:187], v[184:185]
	v_fma_f64 v[184:185], v[4:5], s[8:9], v[10:11]
	v_fma_f64 v[10:11], v[4:5], s[8:9], -v[10:11]
	s_delay_alu instid0(VALU_DEP_2) | instskip(SKIP_2) | instid1(VALU_DEP_2)
	v_add_f64_e32 v[184:185], v[184:185], v[38:39]
	v_fma_f64 v[38:39], v[8:9], s[34:35], v[6:7]
	v_fma_f64 v[6:7], v[8:9], s[18:19], v[6:7]
	v_add_f64_e32 v[186:187], v[38:39], v[186:187]
	v_fma_f64 v[38:39], v[211:212], s[30:31], v[190:191]
	s_delay_alu instid0(VALU_DEP_1) | instskip(NEXT) | instid1(VALU_DEP_1)
	v_add_f64_e32 v[38:39], v[38:39], v[215:216]
	v_add_f64_e32 v[38:39], v[188:189], v[38:39]
	v_add_f64_e32 v[188:189], v[10:11], v[18:19]
	v_fma_f64 v[10:11], v[211:212], s[34:35], v[192:193]
	v_fma_f64 v[18:19], v[8:9], s[26:27], v[36:37]
	s_delay_alu instid0(VALU_DEP_4) | instskip(NEXT) | instid1(VALU_DEP_3)
	v_add_f64_e32 v[14:15], v[14:15], v[38:39]
	v_add_f64_e32 v[10:11], v[10:11], v[213:214]
	s_delay_alu instid0(VALU_DEP_2) | instskip(SKIP_2) | instid1(VALU_DEP_2)
	v_add_f64_e32 v[190:191], v[6:7], v[14:15]
	v_fma_f64 v[6:7], v[209:210], s[8:9], -v[26:27]
	v_fma_f64 v[14:15], v[200:201], s[22:23], -v[194:195]
	v_add_f64_e32 v[6:7], v[6:7], v[231:232]
	s_delay_alu instid0(VALU_DEP_1) | instskip(SKIP_1) | instid1(VALU_DEP_1)
	v_add_f64_e32 v[6:7], v[14:15], v[6:7]
	v_fma_f64 v[14:15], v[202:203], s[24:25], v[222:223]
	v_add_f64_e32 v[10:11], v[14:15], v[10:11]
	v_fma_f64 v[14:15], v[12:13], s[0:1], -v[30:31]
	s_delay_alu instid0(VALU_DEP_1) | instskip(SKIP_1) | instid1(VALU_DEP_1)
	v_add_f64_e32 v[6:7], v[14:15], v[6:7]
	v_fma_f64 v[14:15], v[16:17], s[12:13], v[32:33]
	v_add_f64_e32 v[10:11], v[14:15], v[10:11]
	v_fma_f64 v[14:15], v[4:5], s[14:15], -v[34:35]
	s_delay_alu instid0(VALU_DEP_2) | instskip(NEXT) | instid1(VALU_DEP_2)
	v_add_f64_e32 v[194:195], v[18:19], v[10:11]
	v_add_f64_e32 v[192:193], v[14:15], v[6:7]
	v_fma_f64 v[6:7], v[211:212], s[28:29], v[22:23]
	v_fma_f64 v[10:11], v[200:201], s[14:15], -v[217:218]
	v_fma_f64 v[14:15], v[8:9], s[16:17], v[20:21]
	v_fma_f64 v[8:9], v[8:9], s[12:13], v[251:252]
	s_delay_alu instid0(VALU_DEP_4) | instskip(NEXT) | instid1(VALU_DEP_4)
	v_add_f64_e32 v[6:7], v[6:7], v[198:199]
	v_add_f64_e32 v[2:3], v[10:11], v[2:3]
	v_fma_f64 v[10:11], v[202:203], s[26:27], v[220:221]
	s_delay_alu instid0(VALU_DEP_1) | instskip(SKIP_1) | instid1(VALU_DEP_1)
	v_add_f64_e32 v[6:7], v[10:11], v[6:7]
	v_fma_f64 v[10:11], v[12:13], s[22:23], -v[224:225]
	v_add_f64_e32 v[2:3], v[10:11], v[2:3]
	v_fma_f64 v[10:11], v[16:17], s[24:25], v[253:254]
	s_delay_alu instid0(VALU_DEP_1) | instskip(SKIP_2) | instid1(VALU_DEP_3)
	v_add_f64_e32 v[6:7], v[10:11], v[6:7]
	v_fma_f64 v[10:11], v[4:5], s[2:3], -v[24:25]
	v_fma_f64 v[4:5], v[4:5], s[0:1], -v[249:250]
	v_add_f64_e32 v[198:199], v[14:15], v[6:7]
	s_delay_alu instid0(VALU_DEP_3) | instskip(SKIP_4) | instid1(VALU_DEP_4)
	v_add_f64_e32 v[196:197], v[10:11], v[2:3]
	v_fma_f64 v[2:3], v[209:210], s[14:15], -v[237:238]
	v_fma_f64 v[6:7], v[211:212], s[20:21], v[239:240]
	v_fma_f64 v[10:11], v[200:201], s[8:9], -v[241:242]
	v_fma_f64 v[14:15], v[202:203], s[18:19], v[243:244]
	v_add_f64_e32 v[0:1], v[2:3], v[0:1]
	s_delay_alu instid0(VALU_DEP_4) | instskip(SKIP_2) | instid1(VALU_DEP_4)
	v_add_f64_e32 v[2:3], v[6:7], v[235:236]
	v_fma_f64 v[6:7], v[12:13], s[2:3], -v[245:246]
	v_fma_f64 v[12:13], v[16:17], s[16:17], v[247:248]
	v_add_f64_e32 v[0:1], v[10:11], v[0:1]
	s_delay_alu instid0(VALU_DEP_4) | instskip(NEXT) | instid1(VALU_DEP_2)
	v_add_f64_e32 v[2:3], v[14:15], v[2:3]
	v_add_f64_e32 v[0:1], v[6:7], v[0:1]
	s_delay_alu instid0(VALU_DEP_2) | instskip(NEXT) | instid1(VALU_DEP_2)
	v_add_f64_e32 v[2:3], v[12:13], v[2:3]
	v_add_f64_e32 v[200:201], v[4:5], v[0:1]
	s_delay_alu instid0(VALU_DEP_2)
	v_add_f64_e32 v[202:203], v[8:9], v[2:3]
	ds_store_b128 v226, v[180:183] offset:64
	ds_store_b128 v226, v[184:187] offset:80
	;; [unrolled: 1-line block ×7, first 2 shown]
	ds_store_b128 v226, v[164:167]
	ds_store_b128 v226, v[200:203] offset:160
	s_and_saveexec_b32 s33, vcc_lo
	s_cbranch_execz .LBB0_13
; %bb.12:
	v_add_f64_e32 v[0:1], v[146:147], v[150:151]
	v_add_f64_e32 v[2:3], v[144:145], v[148:149]
	v_add_f64_e64 v[36:37], v[148:149], -v[44:45]
	v_add_f64_e64 v[20:21], v[156:157], -v[52:53]
	;; [unrolled: 1-line block ×3, first 2 shown]
	v_add_f64_e32 v[24:25], v[158:159], v[54:55]
	v_add_f64_e32 v[26:27], v[156:157], v[52:53]
	v_add_f64_e64 v[28:29], v[152:153], -v[48:49]
	v_add_f64_e64 v[30:31], v[154:155], -v[50:51]
	v_add_f64_e32 v[32:33], v[154:155], v[50:51]
	v_add_f64_e32 v[34:35], v[152:153], v[48:49]
	v_add_f64_e64 v[38:39], v[150:151], -v[46:47]
	v_add_f64_e64 v[4:5], v[84:85], -v[80:81]
	v_add_f64_e32 v[10:11], v[84:85], v[80:81]
	v_add_f64_e64 v[12:13], v[68:69], -v[72:73]
	v_add_f64_e64 v[14:15], v[70:71], -v[74:75]
	v_add_f64_e32 v[16:17], v[70:71], v[74:75]
	v_add_f64_e32 v[18:19], v[68:69], v[72:73]
	v_add_f64_e64 v[6:7], v[86:87], -v[82:83]
	v_add_f64_e32 v[8:9], v[86:87], v[82:83]
	v_add_f64_e32 v[0:1], v[0:1], v[154:155]
	;; [unrolled: 1-line block ×3, first 2 shown]
	v_mul_f64_e32 v[177:178], s[30:31], v[4:5]
	v_mul_f64_e32 v[185:186], s[16:17], v[4:5]
	;; [unrolled: 1-line block ×4, first 2 shown]
	v_add_f64_e32 v[0:1], v[0:1], v[158:159]
	v_add_f64_e32 v[2:3], v[2:3], v[156:157]
	s_delay_alu instid0(VALU_DEP_2) | instskip(NEXT) | instid1(VALU_DEP_2)
	v_add_f64_e32 v[0:1], v[0:1], v[70:71]
	v_add_f64_e32 v[2:3], v[2:3], v[68:69]
	s_delay_alu instid0(VALU_DEP_2) | instskip(NEXT) | instid1(VALU_DEP_2)
	v_add_f64_e32 v[0:1], v[0:1], v[86:87]
	v_add_f64_e32 v[2:3], v[2:3], v[84:85]
	v_mul_f64_e32 v[84:85], s[18:19], v[38:39]
	v_mul_f64_e32 v[86:87], s[20:21], v[38:39]
	s_delay_alu instid0(VALU_DEP_4) | instskip(NEXT) | instid1(VALU_DEP_4)
	v_add_f64_e32 v[0:1], v[0:1], v[82:83]
	v_add_f64_e32 v[2:3], v[2:3], v[80:81]
	v_mul_f64_e32 v[82:83], s[16:17], v[38:39]
	s_delay_alu instid0(VALU_DEP_3) | instskip(NEXT) | instid1(VALU_DEP_3)
	v_add_f64_e32 v[0:1], v[0:1], v[74:75]
	v_add_f64_e32 v[2:3], v[2:3], v[72:73]
	s_delay_alu instid0(VALU_DEP_2) | instskip(NEXT) | instid1(VALU_DEP_2)
	v_add_f64_e32 v[0:1], v[0:1], v[54:55]
	v_add_f64_e32 v[2:3], v[2:3], v[52:53]
	v_mul_f64_e32 v[52:53], s[18:19], v[36:37]
	v_mul_f64_e32 v[54:55], s[20:21], v[36:37]
	s_delay_alu instid0(VALU_DEP_4) | instskip(NEXT) | instid1(VALU_DEP_4)
	v_add_f64_e32 v[0:1], v[0:1], v[50:51]
	v_add_f64_e32 v[2:3], v[2:3], v[48:49]
	;; [unrolled: 1-line block ×4, first 2 shown]
	s_delay_alu instid0(VALU_DEP_4) | instskip(NEXT) | instid1(VALU_DEP_4)
	v_add_f64_e32 v[46:47], v[0:1], v[46:47]
	v_add_f64_e32 v[44:45], v[2:3], v[44:45]
	v_mul_f64_e32 v[0:1], s[12:13], v[36:37]
	v_mul_f64_e32 v[2:3], s[16:17], v[36:37]
	;; [unrolled: 1-line block ×3, first 2 shown]
	v_fma_f64 v[72:73], v[48:49], s[8:9], v[52:53]
	v_fma_f64 v[52:53], v[48:49], s[8:9], -v[52:53]
	v_fma_f64 v[74:75], v[48:49], s[14:15], -v[54:55]
	v_fma_f64 v[54:55], v[48:49], s[14:15], v[54:55]
	v_fma_f64 v[150:151], v[50:51], s[2:3], -v[82:83]
	v_fma_f64 v[82:83], v[50:51], s[2:3], v[82:83]
	v_fma_f64 v[152:153], v[50:51], s[8:9], v[84:85]
	v_fma_f64 v[84:85], v[50:51], s[8:9], -v[84:85]
	v_fma_f64 v[154:155], v[50:51], s[14:15], v[86:87]
	v_fma_f64 v[86:87], v[50:51], s[14:15], -v[86:87]
	;; [unrolled: 2-line block ×5, first 2 shown]
	v_mul_f64_e32 v[48:49], s[12:13], v[38:39]
	v_mul_f64_e32 v[38:39], s[24:25], v[38:39]
	v_add_f64_e32 v[163:164], v[146:147], v[52:53]
	v_mul_f64_e32 v[52:53], s[30:31], v[28:29]
	v_add_f64_e32 v[169:170], v[146:147], v[54:55]
	;; [unrolled: 2-line block ×3, first 2 shown]
	v_add_f64_e32 v[165:166], v[146:147], v[74:75]
	v_add_f64_e32 v[171:172], v[144:145], v[86:87]
	v_mul_f64_e32 v[86:87], s[18:19], v[4:5]
	v_add_f64_e32 v[150:151], v[144:145], v[150:151]
	v_add_f64_e32 v[82:83], v[144:145], v[82:83]
	;; [unrolled: 1-line block ×10, first 2 shown]
	v_fma_f64 v[148:149], v[50:51], s[0:1], -v[48:49]
	v_fma_f64 v[48:49], v[50:51], s[0:1], v[48:49]
	v_fma_f64 v[156:157], v[50:51], s[22:23], v[38:39]
	v_fma_f64 v[38:39], v[50:51], s[22:23], -v[38:39]
	v_add_f64_e32 v[50:51], v[146:147], v[68:69]
	v_mul_f64_e32 v[146:147], s[26:27], v[4:5]
	v_mul_f64_e32 v[4:5], s[12:13], v[4:5]
	v_add_f64_e32 v[68:69], v[144:145], v[148:149]
	v_add_f64_e32 v[148:149], v[144:145], v[48:49]
	v_fma_f64 v[48:49], v[32:33], s[22:23], v[52:53]
	v_fma_f64 v[52:53], v[32:33], s[22:23], -v[52:53]
	v_add_f64_e32 v[156:157], v[144:145], v[156:157]
	v_add_f64_e32 v[38:39], v[144:145], v[38:39]
	v_mul_f64_e32 v[144:145], s[18:19], v[6:7]
	v_add_f64_e32 v[48:49], v[48:49], v[50:51]
	v_fma_f64 v[50:51], v[34:35], s[22:23], -v[54:55]
	v_add_f64_e32 v[0:1], v[52:53], v[0:1]
	v_fma_f64 v[52:53], v[34:35], s[22:23], v[54:55]
	s_delay_alu instid0(VALU_DEP_3) | instskip(SKIP_1) | instid1(VALU_DEP_3)
	v_add_f64_e32 v[50:51], v[50:51], v[68:69]
	v_mul_f64_e32 v[68:69], s[16:17], v[20:21]
	v_add_f64_e32 v[52:53], v[52:53], v[148:149]
	v_mul_f64_e32 v[148:149], s[26:27], v[6:7]
	s_delay_alu instid0(VALU_DEP_3) | instskip(SKIP_2) | instid1(VALU_DEP_3)
	v_fma_f64 v[72:73], v[24:25], s[2:3], v[68:69]
	v_fma_f64 v[54:55], v[24:25], s[2:3], -v[68:69]
	v_fma_f64 v[68:69], v[10:11], s[8:9], v[144:145]
	v_add_f64_e32 v[48:49], v[72:73], v[48:49]
	v_mul_f64_e32 v[72:73], s[16:17], v[22:23]
	s_delay_alu instid0(VALU_DEP_4) | instskip(NEXT) | instid1(VALU_DEP_2)
	v_add_f64_e32 v[0:1], v[54:55], v[0:1]
	v_fma_f64 v[74:75], v[26:27], s[2:3], -v[72:73]
	v_fma_f64 v[54:55], v[26:27], s[2:3], v[72:73]
	v_mul_f64_e32 v[72:73], s[34:35], v[30:31]
	s_delay_alu instid0(VALU_DEP_3) | instskip(SKIP_1) | instid1(VALU_DEP_4)
	v_add_f64_e32 v[50:51], v[74:75], v[50:51]
	v_mul_f64_e32 v[74:75], s[26:27], v[12:13]
	v_add_f64_e32 v[52:53], v[54:55], v[52:53]
	s_delay_alu instid0(VALU_DEP_2) | instskip(SKIP_2) | instid1(VALU_DEP_3)
	v_fma_f64 v[80:81], v[16:17], s[14:15], v[74:75]
	v_fma_f64 v[54:55], v[16:17], s[14:15], -v[74:75]
	v_mul_f64_e32 v[74:75], s[24:25], v[20:21]
	v_add_f64_e32 v[48:49], v[80:81], v[48:49]
	v_mul_f64_e32 v[80:81], s[26:27], v[14:15]
	s_delay_alu instid0(VALU_DEP_4) | instskip(NEXT) | instid1(VALU_DEP_2)
	v_add_f64_e32 v[0:1], v[54:55], v[0:1]
	v_fma_f64 v[54:55], v[18:19], s[14:15], v[80:81]
	v_fma_f64 v[84:85], v[18:19], s[14:15], -v[80:81]
	v_fma_f64 v[80:81], v[24:25], s[22:23], v[74:75]
	s_delay_alu instid0(VALU_DEP_3) | instskip(SKIP_1) | instid1(VALU_DEP_4)
	v_add_f64_e32 v[52:53], v[54:55], v[52:53]
	v_fma_f64 v[54:55], v[8:9], s[8:9], -v[86:87]
	v_add_f64_e32 v[84:85], v[84:85], v[50:51]
	v_fma_f64 v[50:51], v[8:9], s[8:9], v[86:87]
	s_delay_alu instid0(VALU_DEP_4) | instskip(NEXT) | instid1(VALU_DEP_4)
	v_add_f64_e32 v[52:53], v[68:69], v[52:53]
	v_add_f64_e32 v[54:55], v[54:55], v[0:1]
	v_mul_f64_e32 v[0:1], s[34:35], v[28:29]
	s_delay_alu instid0(VALU_DEP_4) | instskip(SKIP_1) | instid1(VALU_DEP_3)
	v_add_f64_e32 v[50:51], v[50:51], v[48:49]
	v_fma_f64 v[48:49], v[10:11], s[8:9], -v[144:145]
	v_fma_f64 v[68:69], v[32:33], s[8:9], v[0:1]
	v_fma_f64 v[0:1], v[32:33], s[8:9], -v[0:1]
	s_delay_alu instid0(VALU_DEP_3) | instskip(NEXT) | instid1(VALU_DEP_3)
	v_add_f64_e32 v[48:49], v[48:49], v[84:85]
	v_add_f64_e32 v[68:69], v[68:69], v[70:71]
	v_fma_f64 v[70:71], v[34:35], s[8:9], -v[72:73]
	s_delay_alu instid0(VALU_DEP_4)
	v_add_f64_e32 v[0:1], v[0:1], v[2:3]
	v_fma_f64 v[2:3], v[34:35], s[8:9], v[72:73]
	v_fma_f64 v[72:73], v[24:25], s[22:23], -v[74:75]
	v_add_f64_e32 v[68:69], v[80:81], v[68:69]
	v_mul_f64_e32 v[80:81], s[24:25], v[22:23]
	v_add_f64_e32 v[70:71], v[70:71], v[150:151]
	v_add_f64_e32 v[2:3], v[2:3], v[82:83]
	;; [unrolled: 1-line block ×3, first 2 shown]
	v_mul_f64_e32 v[150:151], s[28:29], v[20:21]
	v_fma_f64 v[84:85], v[26:27], s[22:23], -v[80:81]
	v_fma_f64 v[72:73], v[26:27], s[22:23], v[80:81]
	v_fma_f64 v[80:81], v[10:11], s[14:15], v[148:149]
	s_delay_alu instid0(VALU_DEP_4) | instskip(SKIP_4) | instid1(VALU_DEP_2)
	v_fma_f64 v[82:83], v[24:25], s[0:1], -v[150:151]
	v_fma_f64 v[150:151], v[24:25], s[0:1], v[150:151]
	v_add_f64_e32 v[70:71], v[84:85], v[70:71]
	v_mul_f64_e32 v[84:85], s[12:13], v[12:13]
	v_add_f64_e32 v[2:3], v[72:73], v[2:3]
	v_fma_f64 v[86:87], v[16:17], s[0:1], v[84:85]
	v_fma_f64 v[72:73], v[16:17], s[0:1], -v[84:85]
	s_delay_alu instid0(VALU_DEP_2) | instskip(SKIP_1) | instid1(VALU_DEP_3)
	v_add_f64_e32 v[68:69], v[86:87], v[68:69]
	v_mul_f64_e32 v[86:87], s[12:13], v[14:15]
	v_add_f64_e32 v[0:1], v[72:73], v[0:1]
	s_delay_alu instid0(VALU_DEP_2) | instskip(SKIP_1) | instid1(VALU_DEP_2)
	v_fma_f64 v[144:145], v[18:19], s[0:1], -v[86:87]
	v_fma_f64 v[72:73], v[18:19], s[0:1], v[86:87]
	v_add_f64_e32 v[144:145], v[144:145], v[70:71]
	v_fma_f64 v[70:71], v[8:9], s[14:15], v[146:147]
	s_delay_alu instid0(VALU_DEP_3) | instskip(SKIP_2) | instid1(VALU_DEP_4)
	v_add_f64_e32 v[2:3], v[72:73], v[2:3]
	v_fma_f64 v[72:73], v[8:9], s[14:15], -v[146:147]
	v_mul_f64_e32 v[146:147], s[28:29], v[30:31]
	v_add_f64_e32 v[70:71], v[70:71], v[68:69]
	v_fma_f64 v[68:69], v[10:11], s[14:15], -v[148:149]
	s_delay_alu instid0(VALU_DEP_4)
	v_add_f64_e32 v[74:75], v[72:73], v[0:1]
	v_mul_f64_e32 v[0:1], s[16:17], v[28:29]
	v_mul_f64_e32 v[148:149], s[16:17], v[30:31]
	v_add_f64_e32 v[72:73], v[80:81], v[2:3]
	v_fma_f64 v[86:87], v[34:35], s[0:1], v[146:147]
	v_fma_f64 v[146:147], v[34:35], s[0:1], -v[146:147]
	v_add_f64_e32 v[68:69], v[68:69], v[144:145]
	v_mul_f64_e32 v[144:145], s[28:29], v[28:29]
	v_fma_f64 v[2:3], v[32:33], s[2:3], -v[0:1]
	v_fma_f64 v[80:81], v[34:35], s[2:3], v[148:149]
	v_fma_f64 v[0:1], v[32:33], s[2:3], v[0:1]
	v_fma_f64 v[148:149], v[34:35], s[2:3], -v[148:149]
	v_add_f64_e32 v[86:87], v[86:87], v[152:153]
	v_mul_f64_e32 v[152:153], s[26:27], v[20:21]
	v_mul_f64_e32 v[20:21], s[18:19], v[20:21]
	v_add_f64_e32 v[146:147], v[146:147], v[167:168]
	v_add_f64_e32 v[2:3], v[2:3], v[165:166]
	;; [unrolled: 1-line block ×3, first 2 shown]
	v_mul_f64_e32 v[154:155], s[28:29], v[22:23]
	v_mul_f64_e32 v[165:166], s[34:35], v[12:13]
	v_add_f64_e32 v[0:1], v[0:1], v[169:170]
	v_add_f64_e32 v[148:149], v[148:149], v[171:172]
	;; [unrolled: 1-line block ×3, first 2 shown]
	v_fma_f64 v[82:83], v[26:27], s[0:1], v[154:155]
	s_delay_alu instid0(VALU_DEP_4) | instskip(SKIP_1) | instid1(VALU_DEP_3)
	v_add_f64_e32 v[0:1], v[150:151], v[0:1]
	v_fma_f64 v[150:151], v[26:27], s[0:1], -v[154:155]
	v_add_f64_e32 v[80:81], v[82:83], v[80:81]
	v_fma_f64 v[82:83], v[16:17], s[8:9], -v[165:166]
	s_delay_alu instid0(VALU_DEP_3) | instskip(SKIP_1) | instid1(VALU_DEP_3)
	v_add_f64_e32 v[148:149], v[150:151], v[148:149]
	v_fma_f64 v[150:151], v[16:17], s[8:9], v[165:166]
	v_add_f64_e32 v[2:3], v[82:83], v[2:3]
	v_fma_f64 v[82:83], v[18:19], s[8:9], v[175:176]
	s_delay_alu instid0(VALU_DEP_3) | instskip(SKIP_1) | instid1(VALU_DEP_3)
	v_add_f64_e32 v[0:1], v[150:151], v[0:1]
	v_fma_f64 v[150:151], v[18:19], s[8:9], -v[175:176]
	v_add_f64_e32 v[80:81], v[82:83], v[80:81]
	v_fma_f64 v[82:83], v[8:9], s[22:23], -v[177:178]
	s_delay_alu instid0(VALU_DEP_3) | instskip(SKIP_1) | instid1(VALU_DEP_3)
	v_add_f64_e32 v[148:149], v[150:151], v[148:149]
	v_fma_f64 v[150:151], v[8:9], s[22:23], v[177:178]
	v_add_f64_e32 v[82:83], v[82:83], v[2:3]
	v_mul_f64_e32 v[2:3], s[30:31], v[6:7]
	v_mul_f64_e32 v[6:7], s[12:13], v[6:7]
	s_delay_alu instid0(VALU_DEP_4) | instskip(SKIP_4) | instid1(VALU_DEP_3)
	v_add_f64_e32 v[150:151], v[150:151], v[0:1]
	v_mul_f64_e32 v[0:1], s[20:21], v[28:29]
	v_mul_f64_e32 v[28:29], s[20:21], v[30:31]
	v_fma_f64 v[84:85], v[10:11], s[22:23], v[2:3]
	v_fma_f64 v[2:3], v[10:11], s[22:23], -v[2:3]
	v_fma_f64 v[30:31], v[34:35], s[14:15], v[28:29]
	s_delay_alu instid0(VALU_DEP_3)
	v_add_f64_e32 v[80:81], v[84:85], v[80:81]
	v_fma_f64 v[84:85], v[32:33], s[0:1], -v[144:145]
	v_fma_f64 v[144:145], v[32:33], s[0:1], v[144:145]
	v_add_f64_e32 v[148:149], v[2:3], v[148:149]
	v_fma_f64 v[2:3], v[32:33], s[14:15], -v[0:1]
	v_add_f64_e32 v[30:31], v[30:31], v[156:157]
	v_fma_f64 v[0:1], v[32:33], s[14:15], v[0:1]
	v_add_f64_e32 v[84:85], v[84:85], v[163:164]
	v_fma_f64 v[163:164], v[24:25], s[14:15], -v[152:153]
	v_add_f64_e32 v[144:145], v[144:145], v[158:159]
	v_fma_f64 v[152:153], v[24:25], s[14:15], v[152:153]
	v_add_f64_e32 v[2:3], v[2:3], v[36:37]
	v_fma_f64 v[36:37], v[24:25], s[8:9], -v[20:21]
	v_fma_f64 v[20:21], v[24:25], s[8:9], v[20:21]
	v_add_f64_e32 v[0:1], v[0:1], v[173:174]
	v_fma_f64 v[158:159], v[10:11], s[2:3], -v[187:188]
	v_add_f64_e32 v[84:85], v[163:164], v[84:85]
	v_mul_f64_e32 v[163:164], s[26:27], v[22:23]
	v_mul_f64_e32 v[22:23], s[18:19], v[22:23]
	v_add_f64_e32 v[144:145], v[152:153], v[144:145]
	v_add_f64_e32 v[2:3], v[36:37], v[2:3]
	;; [unrolled: 1-line block ×3, first 2 shown]
	v_fma_f64 v[179:180], v[26:27], s[14:15], v[163:164]
	v_fma_f64 v[152:153], v[26:27], s[14:15], -v[163:164]
	v_fma_f64 v[36:37], v[26:27], s[8:9], v[22:23]
	v_fma_f64 v[22:23], v[26:27], s[8:9], -v[22:23]
	s_delay_alu instid0(VALU_DEP_4) | instskip(SKIP_4) | instid1(VALU_DEP_4)
	v_add_f64_e32 v[86:87], v[179:180], v[86:87]
	v_mul_f64_e32 v[179:180], s[24:25], v[12:13]
	v_mul_f64_e32 v[12:13], s[16:17], v[12:13]
	v_add_f64_e32 v[146:147], v[152:153], v[146:147]
	v_add_f64_e32 v[30:31], v[36:37], v[30:31]
	v_fma_f64 v[181:182], v[16:17], s[22:23], -v[179:180]
	v_fma_f64 v[152:153], v[16:17], s[22:23], v[179:180]
	v_fma_f64 v[36:37], v[16:17], s[2:3], -v[12:13]
	v_fma_f64 v[12:13], v[16:17], s[2:3], v[12:13]
	s_delay_alu instid0(VALU_DEP_4)
	v_add_f64_e32 v[84:85], v[181:182], v[84:85]
	v_mul_f64_e32 v[181:182], s[24:25], v[14:15]
	v_mul_f64_e32 v[14:15], s[16:17], v[14:15]
	v_add_f64_e32 v[144:145], v[152:153], v[144:145]
	v_add_f64_e32 v[2:3], v[36:37], v[2:3]
	;; [unrolled: 1-line block ×3, first 2 shown]
	v_fma_f64 v[152:153], v[18:19], s[22:23], -v[181:182]
	v_fma_f64 v[36:37], v[18:19], s[2:3], v[14:15]
	v_fma_f64 v[183:184], v[18:19], s[22:23], v[181:182]
	v_fma_f64 v[14:15], v[18:19], s[2:3], -v[14:15]
	s_delay_alu instid0(VALU_DEP_4)
	v_add_f64_e32 v[152:153], v[152:153], v[146:147]
	v_fma_f64 v[146:147], v[8:9], s[2:3], v[185:186]
	v_add_f64_e32 v[30:31], v[36:37], v[30:31]
	v_fma_f64 v[36:37], v[8:9], s[0:1], -v[4:5]
	v_fma_f64 v[4:5], v[8:9], s[0:1], v[4:5]
	v_add_f64_e32 v[183:184], v[183:184], v[86:87]
	v_fma_f64 v[86:87], v[8:9], s[2:3], -v[185:186]
	v_add_f64_e32 v[146:147], v[146:147], v[144:145]
	v_add_f64_e32 v[144:145], v[158:159], v[152:153]
	;; [unrolled: 1-line block ×4, first 2 shown]
	s_clause 0x1
	scratch_load_b32 v0, off, off th:TH_LOAD_LU
	scratch_load_b32 v1, off, off offset:172 th:TH_LOAD_LU
	v_fma_f64 v[2:3], v[10:11], s[0:1], v[6:7]
	v_add_f64_e32 v[86:87], v[86:87], v[84:85]
	v_fma_f64 v[84:85], v[10:11], s[2:3], v[187:188]
	v_fma_f64 v[6:7], v[10:11], s[0:1], -v[6:7]
	s_delay_alu instid0(VALU_DEP_4) | instskip(SKIP_1) | instid1(VALU_DEP_4)
	v_add_f64_e32 v[152:153], v[2:3], v[30:31]
	v_fma_f64 v[2:3], v[34:35], s[14:15], -v[28:29]
	v_add_f64_e32 v[84:85], v[84:85], v[183:184]
	s_delay_alu instid0(VALU_DEP_2) | instskip(NEXT) | instid1(VALU_DEP_1)
	v_add_f64_e32 v[2:3], v[2:3], v[38:39]
	v_add_f64_e32 v[2:3], v[22:23], v[2:3]
	s_delay_alu instid0(VALU_DEP_1) | instskip(NEXT) | instid1(VALU_DEP_1)
	v_add_f64_e32 v[2:3], v[14:15], v[2:3]
	v_add_f64_e32 v[156:157], v[6:7], v[2:3]
	s_wait_loadcnt 0x0
	v_lshl_add_u32 v0, v1, 4, v0
	ds_store_b128 v0, v[80:83] offset:32
	ds_store_b128 v0, v[84:87] offset:48
	;; [unrolled: 1-line block ×9, first 2 shown]
	ds_store_b128 v0, v[44:47]
	ds_store_b128 v0, v[156:159] offset:160
.LBB0_13:
	s_or_b32 exec_lo, exec_lo, s33
	global_wb scope:SCOPE_SE
	s_wait_dscnt 0x0
	s_barrier_signal -1
	s_barrier_wait -1
	global_inv scope:SCOPE_SE
	ds_load_b128 v[44:47], v219 offset:528
	ds_load_b128 v[48:51], v219 offset:1056
	;; [unrolled: 1-line block ×13, first 2 shown]
	s_mov_b32 s8, 0x134454ff
	s_mov_b32 s9, 0xbfee6f0e
	;; [unrolled: 1-line block ×3, first 2 shown]
	s_wait_alu 0xfffe
	s_mov_b32 s12, s8
	s_mov_b32 s0, 0x4755a5e
	;; [unrolled: 1-line block ×4, first 2 shown]
	s_wait_dscnt 0xc
	v_mul_f64_e32 v[0:1], v[66:67], v[46:47]
	s_wait_dscnt 0xb
	v_mul_f64_e32 v[4:5], v[62:63], v[50:51]
	;; [unrolled: 2-line block ×3, first 2 shown]
	v_mul_f64_e32 v[8:9], v[62:63], v[48:49]
	s_wait_dscnt 0x9
	v_mul_f64_e32 v[10:11], v[78:79], v[70:71]
	v_mul_f64_e32 v[14:15], v[58:59], v[52:53]
	;; [unrolled: 1-line block ×4, first 2 shown]
	s_wait_dscnt 0x7
	v_mul_f64_e32 v[20:21], v[62:63], v[82:83]
	s_wait_dscnt 0x6
	v_mul_f64_e32 v[22:23], v[58:59], v[86:87]
	v_mul_f64_e32 v[24:25], v[62:63], v[80:81]
	;; [unrolled: 1-line block ×5, first 2 shown]
	s_wait_dscnt 0x5
	v_mul_f64_e32 v[26:27], v[78:79], v[146:147]
	v_mul_f64_e32 v[30:31], v[78:79], v[144:145]
	s_wait_dscnt 0x2
	v_mul_f64_e32 v[36:37], v[98:99], v[158:159]
	s_wait_dscnt 0x1
	v_mul_f64_e32 v[38:39], v[110:111], v[165:166]
	v_mul_f64_e32 v[58:59], v[98:99], v[156:157]
	;; [unrolled: 1-line block ×5, first 2 shown]
	s_wait_dscnt 0x0
	v_mul_f64_e32 v[62:63], v[106:107], v[169:170]
	v_mul_f64_e32 v[78:79], v[106:107], v[167:168]
	s_wait_alu 0xfffe
	s_mov_b32 s2, s0
	v_fma_f64 v[0:1], v[64:65], v[44:45], v[0:1]
	v_fma_f64 v[4:5], v[60:61], v[48:49], v[4:5]
	;; [unrolled: 1-line block ×3, first 2 shown]
	v_fma_f64 v[8:9], v[60:61], v[50:51], -v[8:9]
	v_fma_f64 v[10:11], v[76:77], v[68:69], v[10:11]
	v_fma_f64 v[14:15], v[56:57], v[54:55], -v[14:15]
	v_fma_f64 v[2:3], v[64:65], v[46:47], -v[2:3]
	;; [unrolled: 1-line block ×3, first 2 shown]
	v_fma_f64 v[20:21], v[60:61], v[80:81], v[20:21]
	v_fma_f64 v[22:23], v[56:57], v[84:85], v[22:23]
	v_fma_f64 v[24:25], v[60:61], v[82:83], -v[24:25]
	v_fma_f64 v[28:29], v[56:57], v[86:87], -v[28:29]
	v_fma_f64 v[16:17], v[64:65], v[72:73], v[16:17]
	v_fma_f64 v[18:19], v[64:65], v[74:75], -v[18:19]
	v_fma_f64 v[26:27], v[76:77], v[144:145], v[26:27]
	;; [unrolled: 2-line block ×3, first 2 shown]
	v_fma_f64 v[38:39], v[108:109], v[163:164], v[38:39]
	v_fma_f64 v[52:53], v[96:97], v[158:159], -v[58:59]
	v_fma_f64 v[56:57], v[108:109], v[165:166], -v[66:67]
	v_fma_f64 v[32:33], v[100:101], v[152:153], v[32:33]
	v_fma_f64 v[34:35], v[100:101], v[154:155], -v[34:35]
	v_fma_f64 v[54:55], v[104:105], v[167:168], v[62:63]
	v_fma_f64 v[58:59], v[104:105], v[169:170], -v[78:79]
	ds_load_b128 v[44:47], v219
	ds_load_b128 v[48:51], v219 offset:176
	global_wb scope:SCOPE_SE
	s_wait_dscnt 0x0
	s_barrier_signal -1
	s_barrier_wait -1
	global_inv scope:SCOPE_SE
	v_add_f64_e64 v[74:75], v[0:1], -v[4:5]
	v_add_f64_e32 v[60:61], v[4:5], v[6:7]
	v_add_f64_e64 v[82:83], v[4:5], -v[0:1]
	v_add_f64_e32 v[64:65], v[0:1], v[10:11]
	v_add_f64_e32 v[68:69], v[8:9], v[14:15]
	v_add_f64_e32 v[62:63], v[44:45], v[0:1]
	v_add_f64_e32 v[72:73], v[2:3], v[12:13]
	v_add_f64_e32 v[98:99], v[46:47], v[2:3]
	v_add_f64_e32 v[76:77], v[20:21], v[22:23]
	v_add_f64_e64 v[66:67], v[2:3], -v[12:13]
	v_add_f64_e32 v[84:85], v[24:25], v[28:29]
	v_add_f64_e64 v[70:71], v[8:9], -v[14:15]
	v_add_f64_e64 v[78:79], v[10:11], -v[6:7]
	v_add_f64_e32 v[80:81], v[16:17], v[26:27]
	v_add_f64_e32 v[96:97], v[18:19], v[30:31]
	v_add_f64_e64 v[86:87], v[6:7], -v[10:11]
	v_add_f64_e32 v[100:101], v[36:37], v[38:39]
	v_add_f64_e64 v[0:1], v[0:1], -v[10:11]
	v_add_f64_e32 v[106:107], v[52:53], v[56:57]
	v_add_f64_e32 v[152:153], v[48:49], v[16:17]
	;; [unrolled: 1-line block ×7, first 2 shown]
	v_add_f64_e64 v[104:105], v[4:5], -v[6:7]
	v_add_f64_e64 v[110:111], v[2:3], -v[8:9]
	;; [unrolled: 1-line block ×14, first 2 shown]
	v_fma_f64 v[60:61], v[60:61], -0.5, v[44:45]
	v_add_f64_e64 v[18:19], v[24:25], -v[18:19]
	v_fma_f64 v[44:45], v[64:65], -0.5, v[44:45]
	v_fma_f64 v[68:69], v[68:69], -0.5, v[46:47]
	v_add_f64_e32 v[4:5], v[62:63], v[4:5]
	v_fma_f64 v[46:47], v[72:73], -0.5, v[46:47]
	v_add_f64_e32 v[8:9], v[98:99], v[8:9]
	v_fma_f64 v[76:77], v[76:77], -0.5, v[48:49]
	v_add_f64_e64 v[181:182], v[32:33], -v[36:37]
	v_fma_f64 v[84:85], v[84:85], -0.5, v[50:51]
	v_add_f64_e64 v[32:33], v[36:37], -v[32:33]
	v_add_f64_e64 v[185:186], v[34:35], -v[52:53]
	v_fma_f64 v[48:49], v[80:81], -0.5, v[48:49]
	v_fma_f64 v[50:51], v[96:97], -0.5, v[50:51]
	v_add_f64_e64 v[80:81], v[52:53], -v[56:57]
	v_fma_f64 v[100:101], v[100:101], -0.5, v[148:149]
	v_add_f64_e64 v[34:35], v[52:53], -v[34:35]
	v_fma_f64 v[106:107], v[106:107], -0.5, v[150:151]
	v_add_f64_e32 v[62:63], v[74:75], v[78:79]
	v_add_f64_e32 v[74:75], v[82:83], v[86:87]
	v_fma_f64 v[102:103], v[102:103], -0.5, v[148:149]
	v_add_f64_e64 v[148:149], v[36:37], -v[38:39]
	v_fma_f64 v[108:109], v[108:109], -0.5, v[150:151]
	v_add_f64_e32 v[20:21], v[152:153], v[20:21]
	v_add_f64_e32 v[24:25], v[169:170], v[24:25]
	;; [unrolled: 1-line block ×4, first 2 shown]
	v_add_f64_e64 v[72:73], v[28:29], -v[30:31]
	v_add_f64_e32 v[78:79], v[110:111], v[144:145]
	v_add_f64_e64 v[163:164], v[26:27], -v[22:23]
	v_add_f64_e64 v[167:168], v[22:23], -v[26:27]
	;; [unrolled: 1-line block ×3, first 2 shown]
	v_add_f64_e32 v[2:3], v[2:3], v[146:147]
	v_add_f64_e64 v[96:97], v[54:55], -v[38:39]
	v_add_f64_e64 v[150:151], v[38:39], -v[54:55]
	;; [unrolled: 1-line block ×4, first 2 shown]
	v_fma_f64 v[82:83], v[66:67], s[8:9], v[60:61]
	v_fma_f64 v[60:61], v[66:67], s[12:13], v[60:61]
	;; [unrolled: 1-line block ×24, first 2 shown]
	v_add_f64_e32 v[4:5], v[4:5], v[6:7]
	v_add_f64_e32 v[6:7], v[8:9], v[14:15]
	;; [unrolled: 1-line block ×14, first 2 shown]
	v_fma_f64 v[24:25], v[70:71], s[0:1], v[82:83]
	s_wait_alu 0xfffe
	v_fma_f64 v[28:29], v[70:71], s[2:3], v[60:61]
	v_fma_f64 v[36:37], v[66:67], s[0:1], v[86:87]
	;; [unrolled: 1-line block ×23, first 2 shown]
	s_mov_b32 s0, 0x372fe950
	s_mov_b32 s1, 0x3fd3c6ef
	v_add_f64_e32 v[44:45], v[4:5], v[10:11]
	v_add_f64_e32 v[46:47], v[6:7], v[12:13]
	;; [unrolled: 1-line block ×6, first 2 shown]
	s_mov_b32 s3, 0x3febb67a
	s_wait_alu 0xfffe
	v_fma_f64 v[56:57], v[62:63], s[0:1], v[24:25]
	v_fma_f64 v[60:61], v[62:63], s[0:1], v[28:29]
	;; [unrolled: 1-line block ×24, first 2 shown]
	s_mov_b32 s0, 0xe8584caa
	s_mov_b32 s1, 0xbfebb67a
	s_wait_alu 0xfffe
	s_mov_b32 s2, s0
	ds_store_b128 v219, v[44:47]
	ds_store_b128 v219, v[56:59] offset:176
	ds_store_b128 v219, v[64:67] offset:352
	;; [unrolled: 1-line block ×14, first 2 shown]
	global_wb scope:SCOPE_SE
	s_wait_dscnt 0x0
	s_barrier_signal -1
	s_barrier_wait -1
	global_inv scope:SCOPE_SE
	ds_load_b128 v[44:47], v219 offset:880
	ds_load_b128 v[48:51], v219 offset:1760
	;; [unrolled: 1-line block ×11, first 2 shown]
	s_wait_dscnt 0xa
	v_mul_f64_e32 v[0:1], v[90:91], v[46:47]
	v_mul_f64_e32 v[2:3], v[90:91], v[44:45]
	s_wait_dscnt 0x9
	v_mul_f64_e32 v[4:5], v[94:95], v[50:51]
	v_mul_f64_e32 v[6:7], v[94:95], v[48:49]
	;; [unrolled: 3-line block ×6, first 2 shown]
	s_wait_dscnt 0x4
	v_mul_f64_e32 v[24:25], v[134:135], v[70:71]
	s_wait_dscnt 0x3
	v_mul_f64_e32 v[26:27], v[130:131], v[74:75]
	v_mul_f64_e32 v[28:29], v[134:135], v[68:69]
	;; [unrolled: 1-line block ×3, first 2 shown]
	s_wait_dscnt 0x2
	v_mul_f64_e32 v[32:33], v[142:143], v[78:79]
	s_wait_dscnt 0x1
	v_mul_f64_e32 v[34:35], v[138:139], v[82:83]
	v_mul_f64_e32 v[36:37], v[142:143], v[76:77]
	;; [unrolled: 1-line block ×3, first 2 shown]
	v_fma_f64 v[0:1], v[88:89], v[44:45], v[0:1]
	v_fma_f64 v[2:3], v[88:89], v[46:47], -v[2:3]
	v_fma_f64 v[4:5], v[92:93], v[48:49], v[4:5]
	v_fma_f64 v[6:7], v[92:93], v[50:51], -v[6:7]
	v_fma_f64 v[8:9], v[116:117], v[52:53], v[8:9]
	v_fma_f64 v[10:11], v[116:117], v[54:55], -v[10:11]
	v_fma_f64 v[12:13], v[112:113], v[56:57], v[12:13]
	v_fma_f64 v[14:15], v[112:113], v[58:59], -v[14:15]
	v_fma_f64 v[16:17], v[124:125], v[60:61], v[16:17]
	v_fma_f64 v[18:19], v[124:125], v[62:63], -v[18:19]
	v_fma_f64 v[20:21], v[120:121], v[64:65], v[20:21]
	v_fma_f64 v[22:23], v[120:121], v[66:67], -v[22:23]
	v_fma_f64 v[24:25], v[132:133], v[68:69], v[24:25]
	v_fma_f64 v[26:27], v[128:129], v[72:73], v[26:27]
	v_fma_f64 v[28:29], v[132:133], v[70:71], -v[28:29]
	v_fma_f64 v[30:31], v[128:129], v[74:75], -v[30:31]
	v_fma_f64 v[32:33], v[140:141], v[76:77], v[32:33]
	v_fma_f64 v[34:35], v[136:137], v[80:81], v[34:35]
	v_fma_f64 v[36:37], v[140:141], v[78:79], -v[36:37]
	v_fma_f64 v[38:39], v[136:137], v[82:83], -v[38:39]
	ds_load_b128 v[44:47], v219
	ds_load_b128 v[48:51], v219 offset:176
	ds_load_b128 v[52:55], v219 offset:352
	;; [unrolled: 1-line block ×3, first 2 shown]
	v_add_f64_e32 v[60:61], v[0:1], v[4:5]
	v_add_f64_e32 v[62:63], v[2:3], v[6:7]
	s_wait_dscnt 0x3
	v_add_f64_e32 v[80:81], v[44:45], v[0:1]
	v_add_f64_e64 v[82:83], v[2:3], -v[6:7]
	v_add_f64_e32 v[64:65], v[8:9], v[12:13]
	v_add_f64_e32 v[66:67], v[10:11], v[14:15]
	;; [unrolled: 1-line block ×3, first 2 shown]
	s_wait_dscnt 0x2
	v_add_f64_e32 v[88:89], v[48:49], v[8:9]
	v_add_f64_e32 v[68:69], v[16:17], v[20:21]
	;; [unrolled: 1-line block ×5, first 2 shown]
	s_wait_dscnt 0x1
	v_add_f64_e32 v[92:93], v[52:53], v[16:17]
	v_add_f64_e32 v[74:75], v[28:29], v[30:31]
	;; [unrolled: 1-line block ×4, first 2 shown]
	v_add_f64_e64 v[0:1], v[0:1], -v[4:5]
	v_add_f64_e32 v[78:79], v[36:37], v[38:39]
	v_add_f64_e64 v[10:11], v[10:11], -v[14:15]
	v_add_f64_e64 v[8:9], v[8:9], -v[12:13]
	;; [unrolled: 1-line block ×4, first 2 shown]
	s_wait_dscnt 0x0
	v_add_f64_e32 v[96:97], v[56:57], v[24:25]
	v_add_f64_e32 v[98:99], v[58:59], v[28:29]
	v_add_f64_e64 v[28:29], v[28:29], -v[30:31]
	v_add_f64_e64 v[24:25], v[24:25], -v[26:27]
	v_add_f64_e32 v[100:101], v[84:85], v[32:33]
	v_add_f64_e32 v[102:103], v[86:87], v[36:37]
	v_add_f64_e64 v[36:37], v[36:37], -v[38:39]
	v_add_f64_e64 v[32:33], v[32:33], -v[34:35]
	v_fma_f64 v[104:105], v[60:61], -0.5, v[44:45]
	v_fma_f64 v[106:107], v[62:63], -0.5, v[46:47]
	v_add_f64_e32 v[44:45], v[80:81], v[4:5]
	v_fma_f64 v[108:109], v[64:65], -0.5, v[48:49]
	v_fma_f64 v[110:111], v[66:67], -0.5, v[50:51]
	v_add_f64_e32 v[46:47], v[2:3], v[6:7]
	v_add_f64_e32 v[48:49], v[88:89], v[12:13]
	v_fma_f64 v[112:113], v[68:69], -0.5, v[52:53]
	v_fma_f64 v[114:115], v[70:71], -0.5, v[54:55]
	v_add_f64_e32 v[50:51], v[90:91], v[14:15]
	v_fma_f64 v[116:117], v[72:73], -0.5, v[56:57]
	v_add_f64_e32 v[52:53], v[92:93], v[20:21]
	;; [unrolled: 2-line block ×3, first 2 shown]
	v_fma_f64 v[120:121], v[76:77], -0.5, v[84:85]
	v_mad_co_u64_u32 v[2:3], null, s4, v255, 0
	v_fma_f64 v[122:123], v[78:79], -0.5, v[86:87]
	v_add_f64_e32 v[56:57], v[96:97], v[26:27]
	v_add_f64_e32 v[58:59], v[98:99], v[30:31]
	;; [unrolled: 1-line block ×4, first 2 shown]
	v_fma_f64 v[64:65], v[82:83], s[0:1], v[104:105]
	s_wait_alu 0xfffe
	v_fma_f64 v[66:67], v[0:1], s[2:3], v[106:107]
	v_fma_f64 v[68:69], v[82:83], s[2:3], v[104:105]
	;; [unrolled: 1-line block ×19, first 2 shown]
	ds_store_b128 v219, v[44:47]
	ds_store_b128 v207, v[48:51] offset:176
	ds_store_b128 v207, v[52:55] offset:352
	;; [unrolled: 1-line block ×14, first 2 shown]
	global_wb scope:SCOPE_SE
	s_wait_dscnt 0x0
	s_barrier_signal -1
	s_barrier_wait -1
	global_inv scope:SCOPE_SE
	ds_load_b128 v[44:47], v219
	ds_load_b128 v[48:51], v219 offset:240
	ds_load_b128 v[52:55], v219 offset:480
	;; [unrolled: 1-line block ×10, first 2 shown]
	s_clause 0x1
	scratch_load_b128 v[98:101], off, off offset:4 th:TH_LOAD_LU
	scratch_load_b128 v[118:121], off, off offset:148 th:TH_LOAD_LU
	v_mad_co_u64_u32 v[0:1], null, s6, v206, 0
	s_mul_u64 s[2:3], s[4:5], 15
	s_wait_alu 0xfffe
	s_lshl_b64 s[2:3], s[2:3], 4
	s_delay_alu instid0(VALU_DEP_1) | instskip(SKIP_2) | instid1(VALU_DEP_1)
	v_mad_co_u64_u32 v[4:5], null, s7, v206, v[1:2]
	s_mov_b32 s6, 0x8d3018d3
	s_mov_b32 s7, 0x3f78d301
	v_mad_co_u64_u32 v[5:6], null, s5, v255, v[3:4]
	v_mov_b32_e32 v1, v4
	s_wait_dscnt 0x0
	v_mul_f64_e32 v[92:93], v[42:43], v[86:87]
	v_mul_f64_e32 v[42:43], v[42:43], v[84:85]
	s_delay_alu instid0(VALU_DEP_3) | instskip(SKIP_1) | instid1(VALU_DEP_1)
	v_lshlrev_b64_e32 v[0:1], 4, v[0:1]
	v_mov_b32_e32 v3, v5
	v_lshlrev_b64_e32 v[94:95], 4, v[2:3]
	s_delay_alu instid0(VALU_DEP_3) | instskip(SKIP_1) | instid1(VALU_DEP_4)
	v_add_co_u32 v2, s0, s10, v0
	s_wait_alu 0xf1ff
	v_add_co_ci_u32_e64 v3, s0, s11, v1, s0
	s_delay_alu instid0(VALU_DEP_2) | instskip(SKIP_1) | instid1(VALU_DEP_2)
	v_add_co_u32 v94, s0, v2, v94
	s_wait_alu 0xf1ff
	v_add_co_ci_u32_e64 v95, s0, v3, v95, s0
	s_wait_alu 0xfffe
	s_delay_alu instid0(VALU_DEP_2) | instskip(SKIP_1) | instid1(VALU_DEP_2)
	v_add_co_u32 v96, s0, v94, s2
	s_wait_alu 0xf1ff
	v_add_co_ci_u32_e64 v97, s0, s3, v95, s0
	s_wait_loadcnt 0x1
	v_mul_f64_e32 v[4:5], v[100:101], v[46:47]
	v_mul_f64_e32 v[6:7], v[100:101], v[44:45]
	scratch_load_b128 v[100:103], off, off offset:20 th:TH_LOAD_LU ; 16-byte Folded Reload
	s_wait_loadcnt 0x1
	v_mul_f64_e32 v[36:37], v[120:121], v[78:79]
	v_mul_f64_e32 v[38:39], v[120:121], v[76:77]
	v_fma_f64 v[0:1], v[98:99], v[44:45], v[4:5]
	v_fma_f64 v[6:7], v[98:99], v[46:47], -v[6:7]
	s_delay_alu instid0(VALU_DEP_4) | instskip(NEXT) | instid1(VALU_DEP_4)
	v_fma_f64 v[36:37], v[118:119], v[76:77], v[36:37]
	v_fma_f64 v[38:39], v[118:119], v[78:79], -v[38:39]
	s_delay_alu instid0(VALU_DEP_4) | instskip(NEXT) | instid1(VALU_DEP_4)
	v_mul_f64_e32 v[4:5], s[6:7], v[0:1]
	v_mul_f64_e32 v[6:7], s[6:7], v[6:7]
	s_delay_alu instid0(VALU_DEP_4) | instskip(NEXT) | instid1(VALU_DEP_4)
	v_mul_f64_e32 v[36:37], s[6:7], v[36:37]
	v_mul_f64_e32 v[38:39], s[6:7], v[38:39]
	s_wait_loadcnt 0x0
	v_mul_f64_e32 v[8:9], v[102:103], v[50:51]
	v_mul_f64_e32 v[10:11], v[102:103], v[48:49]
	scratch_load_b128 v[102:105], off, off offset:36 th:TH_LOAD_LU ; 16-byte Folded Reload
	v_fma_f64 v[8:9], v[100:101], v[48:49], v[8:9]
	v_fma_f64 v[10:11], v[100:101], v[50:51], -v[10:11]
	v_fma_f64 v[48:49], v[40:41], v[84:85], v[92:93]
	v_fma_f64 v[50:51], v[40:41], v[86:87], -v[42:43]
	s_delay_alu instid0(VALU_DEP_4) | instskip(NEXT) | instid1(VALU_DEP_4)
	v_mul_f64_e32 v[8:9], s[6:7], v[8:9]
	v_mul_f64_e32 v[10:11], s[6:7], v[10:11]
	s_wait_loadcnt 0x0
	v_mul_f64_e32 v[12:13], v[104:105], v[54:55]
	v_mul_f64_e32 v[14:15], v[104:105], v[52:53]
	scratch_load_b128 v[104:107], off, off offset:52 th:TH_LOAD_LU ; 16-byte Folded Reload
	v_fma_f64 v[12:13], v[102:103], v[52:53], v[12:13]
	v_fma_f64 v[14:15], v[102:103], v[54:55], -v[14:15]
	v_add_co_u32 v52, s0, v96, s2
	s_wait_alu 0xf1ff
	v_add_co_ci_u32_e64 v53, s0, s3, v97, s0
	s_delay_alu instid0(VALU_DEP_2) | instskip(SKIP_1) | instid1(VALU_DEP_2)
	v_add_co_u32 v54, s0, v52, s2
	s_wait_alu 0xf1ff
	v_add_co_ci_u32_e64 v55, s0, s3, v53, s0
	v_mul_f64_e32 v[12:13], s[6:7], v[12:13]
	v_mul_f64_e32 v[14:15], s[6:7], v[14:15]
	s_wait_loadcnt 0x0
	v_mul_f64_e32 v[16:17], v[106:107], v[58:59]
	v_mul_f64_e32 v[18:19], v[106:107], v[56:57]
	scratch_load_b128 v[106:109], off, off offset:68 th:TH_LOAD_LU ; 16-byte Folded Reload
	v_fma_f64 v[16:17], v[104:105], v[56:57], v[16:17]
	v_fma_f64 v[18:19], v[104:105], v[58:59], -v[18:19]
	v_add_co_u32 v56, s0, v54, s2
	s_wait_alu 0xf1ff
	v_add_co_ci_u32_e64 v57, s0, s3, v55, s0
	s_delay_alu instid0(VALU_DEP_4) | instskip(NEXT) | instid1(VALU_DEP_4)
	v_mul_f64_e32 v[16:17], s[6:7], v[16:17]
	v_mul_f64_e32 v[18:19], s[6:7], v[18:19]
	s_wait_loadcnt 0x0
	v_mul_f64_e32 v[20:21], v[108:109], v[62:63]
	v_mul_f64_e32 v[22:23], v[108:109], v[60:61]
	scratch_load_b128 v[108:111], off, off offset:84 th:TH_LOAD_LU ; 16-byte Folded Reload
	v_fma_f64 v[20:21], v[106:107], v[60:61], v[20:21]
	v_fma_f64 v[22:23], v[106:107], v[62:63], -v[22:23]
	s_delay_alu instid0(VALU_DEP_2) | instskip(NEXT) | instid1(VALU_DEP_2)
	v_mul_f64_e32 v[20:21], s[6:7], v[20:21]
	v_mul_f64_e32 v[22:23], s[6:7], v[22:23]
	s_wait_loadcnt 0x0
	v_mul_f64_e32 v[24:25], v[110:111], v[66:67]
	v_mul_f64_e32 v[26:27], v[110:111], v[64:65]
	scratch_load_b128 v[110:113], off, off offset:100 th:TH_LOAD_LU ; 16-byte Folded Reload
	v_fma_f64 v[24:25], v[108:109], v[64:65], v[24:25]
	v_fma_f64 v[26:27], v[108:109], v[66:67], -v[26:27]
	s_delay_alu instid0(VALU_DEP_2) | instskip(NEXT) | instid1(VALU_DEP_2)
	;; [unrolled: 9-line block ×4, first 2 shown]
	v_mul_f64_e32 v[32:33], s[6:7], v[32:33]
	v_mul_f64_e32 v[34:35], s[6:7], v[34:35]
	s_wait_loadcnt 0x0
	v_mul_f64_e32 v[88:89], v[116:117], v[82:83]
	v_mul_f64_e32 v[90:91], v[116:117], v[80:81]
	s_delay_alu instid0(VALU_DEP_2) | instskip(NEXT) | instid1(VALU_DEP_2)
	v_fma_f64 v[44:45], v[114:115], v[80:81], v[88:89]
	v_fma_f64 v[46:47], v[114:115], v[82:83], -v[90:91]
	s_delay_alu instid0(VALU_DEP_2)
	v_mul_f64_e32 v[40:41], s[6:7], v[44:45]
	v_mul_f64_e32 v[44:45], s[6:7], v[48:49]
	v_add_co_u32 v48, s0, v56, s2
	s_wait_alu 0xf1ff
	v_add_co_ci_u32_e64 v49, s0, s3, v57, s0
	v_mul_f64_e32 v[42:43], s[6:7], v[46:47]
	v_mul_f64_e32 v[46:47], s[6:7], v[50:51]
	v_add_co_u32 v50, s0, v48, s2
	s_wait_alu 0xf1ff
	v_add_co_ci_u32_e64 v51, s0, s3, v49, s0
	s_delay_alu instid0(VALU_DEP_2) | instskip(SKIP_1) | instid1(VALU_DEP_2)
	v_add_co_u32 v58, s0, v50, s2
	s_wait_alu 0xf1ff
	v_add_co_ci_u32_e64 v59, s0, s3, v51, s0
	s_delay_alu instid0(VALU_DEP_2) | instskip(SKIP_1) | instid1(VALU_DEP_2)
	;; [unrolled: 4-line block ×4, first 2 shown]
	v_add_co_u32 v0, s0, v62, s2
	s_wait_alu 0xf1ff
	v_add_co_ci_u32_e64 v1, s0, s3, v63, s0
	s_clause 0x4
	global_store_b128 v[94:95], v[4:7], off
	global_store_b128 v[96:97], v[8:11], off
	;; [unrolled: 1-line block ×11, first 2 shown]
	s_and_b32 exec_lo, exec_lo, vcc_lo
	s_cbranch_execz .LBB0_15
; %bb.14:
	global_load_b128 v[4:7], v[204:205], off offset:176
	ds_load_b128 v[8:11], v207 offset:176
	v_mad_co_u64_u32 v[0:1], null, 0xfffff750, s4, v[0:1]
	s_mul_i32 s0, s5, 0xfffff750
	s_wait_alu 0xfffe
	s_sub_co_i32 s0, s0, s4
	s_wait_alu 0xfffe
	s_delay_alu instid0(VALU_DEP_1) | instskip(SKIP_4) | instid1(VALU_DEP_2)
	v_add_nc_u32_e32 v1, s0, v1
	s_mul_i32 s0, s5, 0x1e0
	s_wait_loadcnt_dscnt 0x0
	v_mul_f64_e32 v[12:13], v[10:11], v[6:7]
	v_mul_f64_e32 v[6:7], v[8:9], v[6:7]
	v_fma_f64 v[8:9], v[8:9], v[4:5], v[12:13]
	s_delay_alu instid0(VALU_DEP_2) | instskip(NEXT) | instid1(VALU_DEP_2)
	v_fma_f64 v[6:7], v[4:5], v[10:11], -v[6:7]
	v_mul_f64_e32 v[4:5], s[6:7], v[8:9]
	s_delay_alu instid0(VALU_DEP_2)
	v_mul_f64_e32 v[6:7], s[6:7], v[6:7]
	global_store_b128 v[0:1], v[4:7], off
	global_load_b128 v[4:7], v[204:205], off offset:416
	ds_load_b128 v[8:11], v219 offset:416
	ds_load_b128 v[12:15], v219 offset:656
	v_add_co_u32 v0, vcc_lo, v0, s2
	s_wait_alu 0xfffd
	v_add_co_ci_u32_e32 v1, vcc_lo, s3, v1, vcc_lo
	s_wait_loadcnt_dscnt 0x1
	v_mul_f64_e32 v[16:17], v[10:11], v[6:7]
	v_mul_f64_e32 v[6:7], v[8:9], v[6:7]
	s_delay_alu instid0(VALU_DEP_2) | instskip(NEXT) | instid1(VALU_DEP_2)
	v_fma_f64 v[8:9], v[8:9], v[4:5], v[16:17]
	v_fma_f64 v[6:7], v[4:5], v[10:11], -v[6:7]
	s_delay_alu instid0(VALU_DEP_2) | instskip(NEXT) | instid1(VALU_DEP_2)
	v_mul_f64_e32 v[4:5], s[6:7], v[8:9]
	v_mul_f64_e32 v[6:7], s[6:7], v[6:7]
	global_store_b128 v[0:1], v[4:7], off
	global_load_b128 v[4:7], v[204:205], off offset:656
	v_add_co_u32 v0, vcc_lo, v0, s2
	s_wait_alu 0xfffd
	v_add_co_ci_u32_e32 v1, vcc_lo, s3, v1, vcc_lo
	s_wait_loadcnt_dscnt 0x0
	v_mul_f64_e32 v[8:9], v[14:15], v[6:7]
	v_mul_f64_e32 v[6:7], v[12:13], v[6:7]
	s_delay_alu instid0(VALU_DEP_2) | instskip(NEXT) | instid1(VALU_DEP_2)
	v_fma_f64 v[8:9], v[12:13], v[4:5], v[8:9]
	v_fma_f64 v[6:7], v[4:5], v[14:15], -v[6:7]
	s_delay_alu instid0(VALU_DEP_2) | instskip(NEXT) | instid1(VALU_DEP_2)
	v_mul_f64_e32 v[4:5], s[6:7], v[8:9]
	v_mul_f64_e32 v[6:7], s[6:7], v[6:7]
	global_store_b128 v[0:1], v[4:7], off
	global_load_b128 v[4:7], v[204:205], off offset:896
	ds_load_b128 v[8:11], v219 offset:896
	ds_load_b128 v[12:15], v219 offset:1136
	v_mad_co_u64_u32 v[0:1], null, 0x1e0, s4, v[0:1]
	s_wait_alu 0xfffe
	s_delay_alu instid0(VALU_DEP_1) | instskip(SKIP_3) | instid1(VALU_DEP_2)
	v_add_nc_u32_e32 v1, s0, v1
	s_wait_loadcnt_dscnt 0x1
	v_mul_f64_e32 v[16:17], v[10:11], v[6:7]
	v_mul_f64_e32 v[6:7], v[8:9], v[6:7]
	v_fma_f64 v[8:9], v[8:9], v[4:5], v[16:17]
	scratch_load_b32 v16, off, off offset:168 th:TH_LOAD_LU ; 4-byte Folded Reload
	v_fma_f64 v[6:7], v[4:5], v[10:11], -v[6:7]
	v_mul_f64_e32 v[4:5], s[6:7], v[8:9]
	s_delay_alu instid0(VALU_DEP_2) | instskip(SKIP_2) | instid1(VALU_DEP_1)
	v_mul_f64_e32 v[6:7], s[6:7], v[6:7]
	s_wait_loadcnt 0x0
	v_mad_co_u64_u32 v[10:11], null, s4, v16, 0
	v_mov_b32_e32 v8, v11
	s_delay_alu instid0(VALU_DEP_1) | instskip(NEXT) | instid1(VALU_DEP_1)
	v_mad_co_u64_u32 v[8:9], null, s5, v16, v[8:9]
	v_mov_b32_e32 v11, v8
	s_delay_alu instid0(VALU_DEP_1) | instskip(NEXT) | instid1(VALU_DEP_1)
	v_lshlrev_b64_e32 v[8:9], 4, v[10:11]
	v_add_co_u32 v8, vcc_lo, v2, v8
	s_wait_alu 0xfffd
	s_delay_alu instid0(VALU_DEP_2)
	v_add_co_ci_u32_e32 v9, vcc_lo, v3, v9, vcc_lo
	global_store_b128 v[8:9], v[4:7], off
	global_load_b128 v[4:7], v[204:205], off offset:1136
	s_wait_loadcnt_dscnt 0x0
	v_mul_f64_e32 v[8:9], v[14:15], v[6:7]
	v_mul_f64_e32 v[6:7], v[12:13], v[6:7]
	s_delay_alu instid0(VALU_DEP_2) | instskip(NEXT) | instid1(VALU_DEP_2)
	v_fma_f64 v[8:9], v[12:13], v[4:5], v[8:9]
	v_fma_f64 v[6:7], v[4:5], v[14:15], -v[6:7]
	s_delay_alu instid0(VALU_DEP_2) | instskip(NEXT) | instid1(VALU_DEP_2)
	v_mul_f64_e32 v[4:5], s[6:7], v[8:9]
	v_mul_f64_e32 v[6:7], s[6:7], v[6:7]
	global_store_b128 v[0:1], v[4:7], off
	global_load_b128 v[4:7], v[204:205], off offset:1376
	ds_load_b128 v[8:11], v219 offset:1376
	ds_load_b128 v[12:15], v219 offset:1616
	v_add_co_u32 v0, vcc_lo, v0, s2
	s_wait_alu 0xfffd
	v_add_co_ci_u32_e32 v1, vcc_lo, s3, v1, vcc_lo
	s_wait_loadcnt_dscnt 0x1
	v_mul_f64_e32 v[16:17], v[10:11], v[6:7]
	v_mul_f64_e32 v[6:7], v[8:9], v[6:7]
	s_delay_alu instid0(VALU_DEP_2) | instskip(NEXT) | instid1(VALU_DEP_2)
	v_fma_f64 v[8:9], v[8:9], v[4:5], v[16:17]
	v_fma_f64 v[6:7], v[4:5], v[10:11], -v[6:7]
	v_add_co_u32 v16, vcc_lo, v0, s2
	s_wait_alu 0xfffd
	v_add_co_ci_u32_e32 v17, vcc_lo, s3, v1, vcc_lo
	s_delay_alu instid0(VALU_DEP_4) | instskip(NEXT) | instid1(VALU_DEP_4)
	v_mul_f64_e32 v[4:5], s[6:7], v[8:9]
	v_mul_f64_e32 v[6:7], s[6:7], v[6:7]
	global_store_b128 v[0:1], v[4:7], off
	global_load_b128 v[4:7], v[204:205], off offset:1616
	s_wait_loadcnt_dscnt 0x0
	v_mul_f64_e32 v[8:9], v[14:15], v[6:7]
	v_mul_f64_e32 v[6:7], v[12:13], v[6:7]
	s_delay_alu instid0(VALU_DEP_2) | instskip(NEXT) | instid1(VALU_DEP_2)
	v_fma_f64 v[8:9], v[12:13], v[4:5], v[8:9]
	v_fma_f64 v[6:7], v[4:5], v[14:15], -v[6:7]
	s_delay_alu instid0(VALU_DEP_2) | instskip(NEXT) | instid1(VALU_DEP_2)
	v_mul_f64_e32 v[4:5], s[6:7], v[8:9]
	v_mul_f64_e32 v[6:7], s[6:7], v[6:7]
	global_store_b128 v[16:17], v[4:7], off
	global_load_b128 v[4:7], v[204:205], off offset:1856
	ds_load_b128 v[8:11], v219 offset:1856
	ds_load_b128 v[12:15], v219 offset:2096
	s_wait_loadcnt_dscnt 0x1
	v_mul_f64_e32 v[0:1], v[10:11], v[6:7]
	v_mul_f64_e32 v[6:7], v[8:9], v[6:7]
	s_delay_alu instid0(VALU_DEP_2) | instskip(NEXT) | instid1(VALU_DEP_2)
	v_fma_f64 v[0:1], v[8:9], v[4:5], v[0:1]
	v_fma_f64 v[6:7], v[4:5], v[10:11], -v[6:7]
	scratch_load_b32 v10, off, off offset:164 th:TH_LOAD_LU ; 4-byte Folded Reload
	v_mul_f64_e32 v[4:5], s[6:7], v[0:1]
	v_mul_f64_e32 v[6:7], s[6:7], v[6:7]
	s_wait_loadcnt 0x0
	v_mad_co_u64_u32 v[8:9], null, s4, v10, 0
	s_delay_alu instid0(VALU_DEP_1) | instskip(NEXT) | instid1(VALU_DEP_1)
	v_mov_b32_e32 v0, v9
	v_mad_co_u64_u32 v[0:1], null, s5, v10, v[0:1]
	s_delay_alu instid0(VALU_DEP_1) | instskip(NEXT) | instid1(VALU_DEP_1)
	v_mov_b32_e32 v9, v0
	v_lshlrev_b64_e32 v[0:1], 4, v[8:9]
	s_delay_alu instid0(VALU_DEP_1) | instskip(SKIP_1) | instid1(VALU_DEP_2)
	v_add_co_u32 v0, vcc_lo, v2, v0
	s_wait_alu 0xfffd
	v_add_co_ci_u32_e32 v1, vcc_lo, v3, v1, vcc_lo
	global_store_b128 v[0:1], v[4:7], off
	global_load_b128 v[0:3], v[204:205], off offset:2096
	s_wait_loadcnt_dscnt 0x0
	v_mul_f64_e32 v[4:5], v[14:15], v[2:3]
	v_mul_f64_e32 v[2:3], v[12:13], v[2:3]
	s_delay_alu instid0(VALU_DEP_2) | instskip(NEXT) | instid1(VALU_DEP_2)
	v_fma_f64 v[4:5], v[12:13], v[0:1], v[4:5]
	v_fma_f64 v[2:3], v[0:1], v[14:15], -v[2:3]
	v_mad_co_u64_u32 v[12:13], null, 0x1e0, s4, v[16:17]
	s_delay_alu instid0(VALU_DEP_1) | instskip(NEXT) | instid1(VALU_DEP_4)
	v_add_nc_u32_e32 v13, s0, v13
	v_mul_f64_e32 v[0:1], s[6:7], v[4:5]
	s_delay_alu instid0(VALU_DEP_4)
	v_mul_f64_e32 v[2:3], s[6:7], v[2:3]
	global_store_b128 v[12:13], v[0:3], off
	global_load_b128 v[0:3], v[204:205], off offset:2336
	ds_load_b128 v[4:7], v219 offset:2336
	ds_load_b128 v[8:11], v219 offset:2576
	s_wait_loadcnt_dscnt 0x1
	v_mul_f64_e32 v[14:15], v[6:7], v[2:3]
	v_mul_f64_e32 v[2:3], v[4:5], v[2:3]
	s_delay_alu instid0(VALU_DEP_2) | instskip(NEXT) | instid1(VALU_DEP_2)
	v_fma_f64 v[4:5], v[4:5], v[0:1], v[14:15]
	v_fma_f64 v[2:3], v[0:1], v[6:7], -v[2:3]
	s_delay_alu instid0(VALU_DEP_2) | instskip(NEXT) | instid1(VALU_DEP_2)
	v_mul_f64_e32 v[0:1], s[6:7], v[4:5]
	v_mul_f64_e32 v[2:3], s[6:7], v[2:3]
	v_add_co_u32 v4, vcc_lo, v12, s2
	s_wait_alu 0xfffd
	v_add_co_ci_u32_e32 v5, vcc_lo, s3, v13, vcc_lo
	global_store_b128 v[4:5], v[0:3], off
	global_load_b128 v[0:3], v[204:205], off offset:2576
	v_add_co_u32 v4, vcc_lo, v4, s2
	s_wait_alu 0xfffd
	v_add_co_ci_u32_e32 v5, vcc_lo, s3, v5, vcc_lo
	s_wait_loadcnt_dscnt 0x0
	v_mul_f64_e32 v[6:7], v[10:11], v[2:3]
	v_mul_f64_e32 v[2:3], v[8:9], v[2:3]
	s_delay_alu instid0(VALU_DEP_2) | instskip(NEXT) | instid1(VALU_DEP_2)
	v_fma_f64 v[6:7], v[8:9], v[0:1], v[6:7]
	v_fma_f64 v[2:3], v[0:1], v[10:11], -v[2:3]
	s_delay_alu instid0(VALU_DEP_2) | instskip(NEXT) | instid1(VALU_DEP_2)
	v_mul_f64_e32 v[0:1], s[6:7], v[6:7]
	v_mul_f64_e32 v[2:3], s[6:7], v[2:3]
	global_store_b128 v[4:5], v[0:3], off
.LBB0_15:
	s_nop 0
	s_sendmsg sendmsg(MSG_DEALLOC_VGPRS)
	s_endpgm
	.section	.rodata,"a",@progbits
	.p2align	6, 0x0
	.amdhsa_kernel bluestein_single_back_len165_dim1_dp_op_CI_CI
		.amdhsa_group_segment_fixed_size 13200
		.amdhsa_private_segment_fixed_size 180
		.amdhsa_kernarg_size 104
		.amdhsa_user_sgpr_count 2
		.amdhsa_user_sgpr_dispatch_ptr 0
		.amdhsa_user_sgpr_queue_ptr 0
		.amdhsa_user_sgpr_kernarg_segment_ptr 1
		.amdhsa_user_sgpr_dispatch_id 0
		.amdhsa_user_sgpr_private_segment_size 0
		.amdhsa_wavefront_size32 1
		.amdhsa_uses_dynamic_stack 0
		.amdhsa_enable_private_segment 1
		.amdhsa_system_sgpr_workgroup_id_x 1
		.amdhsa_system_sgpr_workgroup_id_y 0
		.amdhsa_system_sgpr_workgroup_id_z 0
		.amdhsa_system_sgpr_workgroup_info 0
		.amdhsa_system_vgpr_workitem_id 0
		.amdhsa_next_free_vgpr 256
		.amdhsa_next_free_sgpr 40
		.amdhsa_reserve_vcc 1
		.amdhsa_float_round_mode_32 0
		.amdhsa_float_round_mode_16_64 0
		.amdhsa_float_denorm_mode_32 3
		.amdhsa_float_denorm_mode_16_64 3
		.amdhsa_fp16_overflow 0
		.amdhsa_workgroup_processor_mode 1
		.amdhsa_memory_ordered 1
		.amdhsa_forward_progress 0
		.amdhsa_round_robin_scheduling 0
		.amdhsa_exception_fp_ieee_invalid_op 0
		.amdhsa_exception_fp_denorm_src 0
		.amdhsa_exception_fp_ieee_div_zero 0
		.amdhsa_exception_fp_ieee_overflow 0
		.amdhsa_exception_fp_ieee_underflow 0
		.amdhsa_exception_fp_ieee_inexact 0
		.amdhsa_exception_int_div_zero 0
	.end_amdhsa_kernel
	.text
.Lfunc_end0:
	.size	bluestein_single_back_len165_dim1_dp_op_CI_CI, .Lfunc_end0-bluestein_single_back_len165_dim1_dp_op_CI_CI
                                        ; -- End function
	.section	.AMDGPU.csdata,"",@progbits
; Kernel info:
; codeLenInByte = 21404
; NumSgprs: 42
; NumVgprs: 256
; ScratchSize: 180
; MemoryBound: 0
; FloatMode: 240
; IeeeMode: 1
; LDSByteSize: 13200 bytes/workgroup (compile time only)
; SGPRBlocks: 5
; VGPRBlocks: 31
; NumSGPRsForWavesPerEU: 42
; NumVGPRsForWavesPerEU: 256
; Occupancy: 5
; WaveLimiterHint : 1
; COMPUTE_PGM_RSRC2:SCRATCH_EN: 1
; COMPUTE_PGM_RSRC2:USER_SGPR: 2
; COMPUTE_PGM_RSRC2:TRAP_HANDLER: 0
; COMPUTE_PGM_RSRC2:TGID_X_EN: 1
; COMPUTE_PGM_RSRC2:TGID_Y_EN: 0
; COMPUTE_PGM_RSRC2:TGID_Z_EN: 0
; COMPUTE_PGM_RSRC2:TIDIG_COMP_CNT: 0
	.text
	.p2alignl 7, 3214868480
	.fill 96, 4, 3214868480
	.type	__hip_cuid_2c7cb9ff7973eafd,@object ; @__hip_cuid_2c7cb9ff7973eafd
	.section	.bss,"aw",@nobits
	.globl	__hip_cuid_2c7cb9ff7973eafd
__hip_cuid_2c7cb9ff7973eafd:
	.byte	0                               ; 0x0
	.size	__hip_cuid_2c7cb9ff7973eafd, 1

	.ident	"AMD clang version 19.0.0git (https://github.com/RadeonOpenCompute/llvm-project roc-6.4.0 25133 c7fe45cf4b819c5991fe208aaa96edf142730f1d)"
	.section	".note.GNU-stack","",@progbits
	.addrsig
	.addrsig_sym __hip_cuid_2c7cb9ff7973eafd
	.amdgpu_metadata
---
amdhsa.kernels:
  - .args:
      - .actual_access:  read_only
        .address_space:  global
        .offset:         0
        .size:           8
        .value_kind:     global_buffer
      - .actual_access:  read_only
        .address_space:  global
        .offset:         8
        .size:           8
        .value_kind:     global_buffer
      - .actual_access:  read_only
        .address_space:  global
        .offset:         16
        .size:           8
        .value_kind:     global_buffer
      - .actual_access:  read_only
        .address_space:  global
        .offset:         24
        .size:           8
        .value_kind:     global_buffer
      - .actual_access:  read_only
        .address_space:  global
        .offset:         32
        .size:           8
        .value_kind:     global_buffer
      - .offset:         40
        .size:           8
        .value_kind:     by_value
      - .address_space:  global
        .offset:         48
        .size:           8
        .value_kind:     global_buffer
      - .address_space:  global
        .offset:         56
        .size:           8
        .value_kind:     global_buffer
      - .address_space:  global
        .offset:         64
        .size:           8
        .value_kind:     global_buffer
      - .address_space:  global
        .offset:         72
        .size:           8
        .value_kind:     global_buffer
      - .offset:         80
        .size:           4
        .value_kind:     by_value
      - .address_space:  global
        .offset:         88
        .size:           8
        .value_kind:     global_buffer
      - .address_space:  global
        .offset:         96
        .size:           8
        .value_kind:     global_buffer
    .group_segment_fixed_size: 13200
    .kernarg_segment_align: 8
    .kernarg_segment_size: 104
    .language:       OpenCL C
    .language_version:
      - 2
      - 0
    .max_flat_workgroup_size: 55
    .name:           bluestein_single_back_len165_dim1_dp_op_CI_CI
    .private_segment_fixed_size: 180
    .sgpr_count:     42
    .sgpr_spill_count: 0
    .symbol:         bluestein_single_back_len165_dim1_dp_op_CI_CI.kd
    .uniform_work_group_size: 1
    .uses_dynamic_stack: false
    .vgpr_count:     256
    .vgpr_spill_count: 44
    .wavefront_size: 32
    .workgroup_processor_mode: 1
amdhsa.target:   amdgcn-amd-amdhsa--gfx1201
amdhsa.version:
  - 1
  - 2
...

	.end_amdgpu_metadata
